;; amdgpu-corpus repo=ROCm/rocFFT kind=compiled arch=gfx1030 opt=O3
	.text
	.amdgcn_target "amdgcn-amd-amdhsa--gfx1030"
	.amdhsa_code_object_version 6
	.protected	fft_rtc_fwd_len2916_factors_6_6_3_3_3_3_wgs_243_tpt_243_halfLds_dp_op_CI_CI_unitstride_sbrr_C2R_dirReg ; -- Begin function fft_rtc_fwd_len2916_factors_6_6_3_3_3_3_wgs_243_tpt_243_halfLds_dp_op_CI_CI_unitstride_sbrr_C2R_dirReg
	.globl	fft_rtc_fwd_len2916_factors_6_6_3_3_3_3_wgs_243_tpt_243_halfLds_dp_op_CI_CI_unitstride_sbrr_C2R_dirReg
	.p2align	8
	.type	fft_rtc_fwd_len2916_factors_6_6_3_3_3_3_wgs_243_tpt_243_halfLds_dp_op_CI_CI_unitstride_sbrr_C2R_dirReg,@function
fft_rtc_fwd_len2916_factors_6_6_3_3_3_3_wgs_243_tpt_243_halfLds_dp_op_CI_CI_unitstride_sbrr_C2R_dirReg: ; @fft_rtc_fwd_len2916_factors_6_6_3_3_3_3_wgs_243_tpt_243_halfLds_dp_op_CI_CI_unitstride_sbrr_C2R_dirReg
; %bb.0:
	s_clause 0x2
	s_load_dwordx4 s[12:15], s[4:5], 0x0
	s_load_dwordx4 s[8:11], s[4:5], 0x58
	;; [unrolled: 1-line block ×3, first 2 shown]
	v_mul_u32_u24_e32 v1, 0x10e, v0
	v_mov_b32_e32 v3, 0
	v_add_nc_u32_sdwa v5, s6, v1 dst_sel:DWORD dst_unused:UNUSED_PAD src0_sel:DWORD src1_sel:WORD_1
	v_mov_b32_e32 v1, 0
	v_mov_b32_e32 v6, v3
	v_mov_b32_e32 v2, 0
	s_waitcnt lgkmcnt(0)
	v_cmp_lt_u64_e64 s0, s[14:15], 2
	s_and_b32 vcc_lo, exec_lo, s0
	s_cbranch_vccnz .LBB0_8
; %bb.1:
	s_load_dwordx2 s[0:1], s[4:5], 0x10
	v_mov_b32_e32 v1, 0
	v_mov_b32_e32 v2, 0
	s_add_u32 s2, s18, 8
	s_addc_u32 s3, s19, 0
	s_add_u32 s6, s16, 8
	s_addc_u32 s7, s17, 0
	v_mov_b32_e32 v21, v2
	v_mov_b32_e32 v20, v1
	s_mov_b64 s[22:23], 1
	s_waitcnt lgkmcnt(0)
	s_add_u32 s20, s0, 8
	s_addc_u32 s21, s1, 0
.LBB0_2:                                ; =>This Inner Loop Header: Depth=1
	s_load_dwordx2 s[24:25], s[20:21], 0x0
                                        ; implicit-def: $vgpr24_vgpr25
	s_mov_b32 s0, exec_lo
	s_waitcnt lgkmcnt(0)
	v_or_b32_e32 v4, s25, v6
	v_cmpx_ne_u64_e32 0, v[3:4]
	s_xor_b32 s1, exec_lo, s0
	s_cbranch_execz .LBB0_4
; %bb.3:                                ;   in Loop: Header=BB0_2 Depth=1
	v_cvt_f32_u32_e32 v4, s24
	v_cvt_f32_u32_e32 v7, s25
	s_sub_u32 s0, 0, s24
	s_subb_u32 s26, 0, s25
	v_fmac_f32_e32 v4, 0x4f800000, v7
	v_rcp_f32_e32 v4, v4
	v_mul_f32_e32 v4, 0x5f7ffffc, v4
	v_mul_f32_e32 v7, 0x2f800000, v4
	v_trunc_f32_e32 v7, v7
	v_fmac_f32_e32 v4, 0xcf800000, v7
	v_cvt_u32_f32_e32 v7, v7
	v_cvt_u32_f32_e32 v4, v4
	v_mul_lo_u32 v8, s0, v7
	v_mul_hi_u32 v9, s0, v4
	v_mul_lo_u32 v10, s26, v4
	v_add_nc_u32_e32 v8, v9, v8
	v_mul_lo_u32 v9, s0, v4
	v_add_nc_u32_e32 v8, v8, v10
	v_mul_hi_u32 v10, v4, v9
	v_mul_lo_u32 v11, v4, v8
	v_mul_hi_u32 v12, v4, v8
	v_mul_hi_u32 v13, v7, v9
	v_mul_lo_u32 v9, v7, v9
	v_mul_hi_u32 v14, v7, v8
	v_mul_lo_u32 v8, v7, v8
	v_add_co_u32 v10, vcc_lo, v10, v11
	v_add_co_ci_u32_e32 v11, vcc_lo, 0, v12, vcc_lo
	v_add_co_u32 v9, vcc_lo, v10, v9
	v_add_co_ci_u32_e32 v9, vcc_lo, v11, v13, vcc_lo
	v_add_co_ci_u32_e32 v10, vcc_lo, 0, v14, vcc_lo
	v_add_co_u32 v8, vcc_lo, v9, v8
	v_add_co_ci_u32_e32 v9, vcc_lo, 0, v10, vcc_lo
	v_add_co_u32 v4, vcc_lo, v4, v8
	v_add_co_ci_u32_e32 v7, vcc_lo, v7, v9, vcc_lo
	v_mul_hi_u32 v8, s0, v4
	v_mul_lo_u32 v10, s26, v4
	v_mul_lo_u32 v9, s0, v7
	v_add_nc_u32_e32 v8, v8, v9
	v_mul_lo_u32 v9, s0, v4
	v_add_nc_u32_e32 v8, v8, v10
	v_mul_hi_u32 v10, v4, v9
	v_mul_lo_u32 v11, v4, v8
	v_mul_hi_u32 v12, v4, v8
	v_mul_hi_u32 v13, v7, v9
	v_mul_lo_u32 v9, v7, v9
	v_mul_hi_u32 v14, v7, v8
	v_mul_lo_u32 v8, v7, v8
	v_add_co_u32 v10, vcc_lo, v10, v11
	v_add_co_ci_u32_e32 v11, vcc_lo, 0, v12, vcc_lo
	v_add_co_u32 v9, vcc_lo, v10, v9
	v_add_co_ci_u32_e32 v9, vcc_lo, v11, v13, vcc_lo
	v_add_co_ci_u32_e32 v10, vcc_lo, 0, v14, vcc_lo
	v_add_co_u32 v8, vcc_lo, v9, v8
	v_add_co_ci_u32_e32 v9, vcc_lo, 0, v10, vcc_lo
	v_add_co_u32 v4, vcc_lo, v4, v8
	v_add_co_ci_u32_e32 v11, vcc_lo, v7, v9, vcc_lo
	v_mul_hi_u32 v13, v5, v4
	v_mad_u64_u32 v[9:10], null, v6, v4, 0
	v_mad_u64_u32 v[7:8], null, v5, v11, 0
	;; [unrolled: 1-line block ×3, first 2 shown]
	v_add_co_u32 v4, vcc_lo, v13, v7
	v_add_co_ci_u32_e32 v7, vcc_lo, 0, v8, vcc_lo
	v_add_co_u32 v4, vcc_lo, v4, v9
	v_add_co_ci_u32_e32 v4, vcc_lo, v7, v10, vcc_lo
	v_add_co_ci_u32_e32 v7, vcc_lo, 0, v12, vcc_lo
	v_add_co_u32 v4, vcc_lo, v4, v11
	v_add_co_ci_u32_e32 v9, vcc_lo, 0, v7, vcc_lo
	v_mul_lo_u32 v10, s25, v4
	v_mad_u64_u32 v[7:8], null, s24, v4, 0
	v_mul_lo_u32 v11, s24, v9
	v_sub_co_u32 v7, vcc_lo, v5, v7
	v_add3_u32 v8, v8, v11, v10
	v_sub_nc_u32_e32 v10, v6, v8
	v_subrev_co_ci_u32_e64 v10, s0, s25, v10, vcc_lo
	v_add_co_u32 v11, s0, v4, 2
	v_add_co_ci_u32_e64 v12, s0, 0, v9, s0
	v_sub_co_u32 v13, s0, v7, s24
	v_sub_co_ci_u32_e32 v8, vcc_lo, v6, v8, vcc_lo
	v_subrev_co_ci_u32_e64 v10, s0, 0, v10, s0
	v_cmp_le_u32_e32 vcc_lo, s24, v13
	v_cmp_eq_u32_e64 s0, s25, v8
	v_cndmask_b32_e64 v13, 0, -1, vcc_lo
	v_cmp_le_u32_e32 vcc_lo, s25, v10
	v_cndmask_b32_e64 v14, 0, -1, vcc_lo
	v_cmp_le_u32_e32 vcc_lo, s24, v7
	;; [unrolled: 2-line block ×3, first 2 shown]
	v_cndmask_b32_e64 v15, 0, -1, vcc_lo
	v_cmp_eq_u32_e32 vcc_lo, s25, v10
	v_cndmask_b32_e64 v7, v15, v7, s0
	v_cndmask_b32_e32 v10, v14, v13, vcc_lo
	v_add_co_u32 v13, vcc_lo, v4, 1
	v_add_co_ci_u32_e32 v14, vcc_lo, 0, v9, vcc_lo
	v_cmp_ne_u32_e32 vcc_lo, 0, v10
	v_cndmask_b32_e32 v8, v14, v12, vcc_lo
	v_cndmask_b32_e32 v10, v13, v11, vcc_lo
	v_cmp_ne_u32_e32 vcc_lo, 0, v7
	v_cndmask_b32_e32 v25, v9, v8, vcc_lo
	v_cndmask_b32_e32 v24, v4, v10, vcc_lo
.LBB0_4:                                ;   in Loop: Header=BB0_2 Depth=1
	s_andn2_saveexec_b32 s0, s1
	s_cbranch_execz .LBB0_6
; %bb.5:                                ;   in Loop: Header=BB0_2 Depth=1
	v_cvt_f32_u32_e32 v4, s24
	s_sub_i32 s1, 0, s24
	v_mov_b32_e32 v25, v3
	v_rcp_iflag_f32_e32 v4, v4
	v_mul_f32_e32 v4, 0x4f7ffffe, v4
	v_cvt_u32_f32_e32 v4, v4
	v_mul_lo_u32 v7, s1, v4
	v_mul_hi_u32 v7, v4, v7
	v_add_nc_u32_e32 v4, v4, v7
	v_mul_hi_u32 v4, v5, v4
	v_mul_lo_u32 v7, v4, s24
	v_add_nc_u32_e32 v8, 1, v4
	v_sub_nc_u32_e32 v7, v5, v7
	v_subrev_nc_u32_e32 v9, s24, v7
	v_cmp_le_u32_e32 vcc_lo, s24, v7
	v_cndmask_b32_e32 v7, v7, v9, vcc_lo
	v_cndmask_b32_e32 v4, v4, v8, vcc_lo
	v_cmp_le_u32_e32 vcc_lo, s24, v7
	v_add_nc_u32_e32 v8, 1, v4
	v_cndmask_b32_e32 v24, v4, v8, vcc_lo
.LBB0_6:                                ;   in Loop: Header=BB0_2 Depth=1
	s_or_b32 exec_lo, exec_lo, s0
	v_mul_lo_u32 v4, v25, s24
	v_mul_lo_u32 v9, v24, s25
	s_load_dwordx2 s[0:1], s[6:7], 0x0
	v_mad_u64_u32 v[7:8], null, v24, s24, 0
	s_load_dwordx2 s[24:25], s[2:3], 0x0
	s_add_u32 s22, s22, 1
	s_addc_u32 s23, s23, 0
	s_add_u32 s2, s2, 8
	s_addc_u32 s3, s3, 0
	s_add_u32 s6, s6, 8
	v_add3_u32 v4, v8, v9, v4
	v_sub_co_u32 v5, vcc_lo, v5, v7
	s_addc_u32 s7, s7, 0
	s_add_u32 s20, s20, 8
	v_sub_co_ci_u32_e32 v4, vcc_lo, v6, v4, vcc_lo
	s_addc_u32 s21, s21, 0
	s_waitcnt lgkmcnt(0)
	v_mul_lo_u32 v6, s0, v4
	v_mul_lo_u32 v7, s1, v5
	v_mad_u64_u32 v[1:2], null, s0, v5, v[1:2]
	v_mul_lo_u32 v4, s24, v4
	v_mul_lo_u32 v8, s25, v5
	v_mad_u64_u32 v[20:21], null, s24, v5, v[20:21]
	v_cmp_ge_u64_e64 s0, s[22:23], s[14:15]
	v_add3_u32 v2, v7, v2, v6
	v_add3_u32 v21, v8, v21, v4
	s_and_b32 vcc_lo, exec_lo, s0
	s_cbranch_vccnz .LBB0_9
; %bb.7:                                ;   in Loop: Header=BB0_2 Depth=1
	v_mov_b32_e32 v5, v24
	v_mov_b32_e32 v6, v25
	s_branch .LBB0_2
.LBB0_8:
	v_mov_b32_e32 v21, v2
	v_mov_b32_e32 v25, v6
	;; [unrolled: 1-line block ×4, first 2 shown]
.LBB0_9:
	s_load_dwordx2 s[0:1], s[4:5], 0x28
	v_mul_hi_u32 v3, 0x10db20b, v0
	s_lshl_b64 s[4:5], s[14:15], 3
                                        ; implicit-def: $vgpr22
	s_add_u32 s2, s18, s4
	s_addc_u32 s3, s19, s5
	s_waitcnt lgkmcnt(0)
	v_cmp_gt_u64_e32 vcc_lo, s[0:1], v[24:25]
	v_cmp_le_u64_e64 s0, s[0:1], v[24:25]
	s_and_saveexec_b32 s1, s0
	s_xor_b32 s0, exec_lo, s1
; %bb.10:
	v_mul_u32_u24_e32 v1, 0xf3, v3
                                        ; implicit-def: $vgpr3
	v_sub_nc_u32_e32 v22, v0, v1
                                        ; implicit-def: $vgpr0
                                        ; implicit-def: $vgpr1_vgpr2
; %bb.11:
	s_or_saveexec_b32 s1, s0
	s_load_dwordx2 s[2:3], s[2:3], 0x0
	s_xor_b32 exec_lo, exec_lo, s1
	s_cbranch_execz .LBB0_15
; %bb.12:
	s_add_u32 s4, s16, s4
	s_addc_u32 s5, s17, s5
	v_lshlrev_b64 v[1:2], 4, v[1:2]
	s_load_dwordx2 s[4:5], s[4:5], 0x0
	s_waitcnt lgkmcnt(0)
	v_mul_lo_u32 v6, s5, v24
	v_mul_lo_u32 v7, s4, v25
	v_mad_u64_u32 v[4:5], null, s4, v24, 0
	s_mov_b32 s4, exec_lo
	v_add3_u32 v5, v5, v7, v6
	v_mul_u32_u24_e32 v6, 0xf3, v3
	v_lshlrev_b64 v[3:4], 4, v[4:5]
	v_sub_nc_u32_e32 v22, v0, v6
	v_lshlrev_b32_e32 v23, 4, v22
	v_add_co_u32 v0, s0, s8, v3
	v_add_co_ci_u32_e64 v3, s0, s9, v4, s0
	v_add_co_u32 v0, s0, v0, v1
	v_add_co_ci_u32_e64 v1, s0, v3, v2, s0
	;; [unrolled: 2-line block ×13, first 2 shown]
	s_clause 0x5
	global_load_dwordx4 v[2:5], v[18:19], off
	global_load_dwordx4 v[6:9], v[6:7], off offset:1840
	global_load_dwordx4 v[10:13], v[10:11], off offset:1632
	;; [unrolled: 1-line block ×5, first 2 shown]
	v_add_co_u32 v18, s0, 0xa000, v18
	v_add_co_ci_u32_e64 v19, s0, 0, v19, s0
	s_clause 0x5
	global_load_dwordx4 v[34:37], v[34:35], off offset:800
	global_load_dwordx4 v[38:41], v[38:39], off offset:592
	global_load_dwordx4 v[42:45], v[42:43], off offset:384
	global_load_dwordx4 v[46:49], v[46:47], off offset:176
	global_load_dwordx4 v[50:53], v[50:51], off offset:2016
	global_load_dwordx4 v[54:57], v[18:19], off offset:1808
	v_add_nc_u32_e32 v18, 0, v23
	s_waitcnt vmcnt(11)
	ds_write_b128 v18, v[2:5]
	s_waitcnt vmcnt(10)
	ds_write_b128 v18, v[6:9] offset:3888
	s_waitcnt vmcnt(9)
	ds_write_b128 v18, v[10:13] offset:7776
	;; [unrolled: 2-line block ×11, first 2 shown]
	v_cmpx_eq_u32_e32 0xf2, v22
	s_cbranch_execz .LBB0_14
; %bb.13:
	v_add_co_u32 v0, s0, 0xb000, v0
	v_add_co_ci_u32_e64 v1, s0, 0, v1, s0
	v_mov_b32_e32 v4, 0
	v_mov_b32_e32 v22, 0xf2
	global_load_dwordx4 v[0:3], v[0:1], off offset:1600
	s_waitcnt vmcnt(0)
	ds_write_b128 v4, v[0:3] offset:46656
.LBB0_14:
	s_or_b32 exec_lo, exec_lo, s4
.LBB0_15:
	s_or_b32 exec_lo, exec_lo, s1
	v_lshlrev_b32_e32 v0, 4, v22
	s_waitcnt lgkmcnt(0)
	s_barrier
	buffer_gl0_inv
	s_add_u32 s1, s12, 0xb5e0
	v_add_nc_u32_e32 v31, 0, v0
	v_sub_nc_u32_e32 v8, 0, v0
	s_addc_u32 s4, s13, 0
	s_mov_b32 s5, exec_lo
	ds_read_b64 v[4:5], v31
	ds_read_b64 v[6:7], v8 offset:46656
	s_waitcnt lgkmcnt(0)
	v_add_f64 v[0:1], v[4:5], v[6:7]
	v_add_f64 v[2:3], v[4:5], -v[6:7]
	v_cmpx_ne_u32_e32 0, v22
	s_xor_b32 s5, exec_lo, s5
	s_cbranch_execz .LBB0_17
; %bb.16:
	v_mov_b32_e32 v23, 0
	v_add_f64 v[13:14], v[4:5], v[6:7]
	v_add_f64 v[15:16], v[4:5], -v[6:7]
	v_lshlrev_b64 v[0:1], 4, v[22:23]
	v_add_co_u32 v0, s0, s1, v0
	v_add_co_ci_u32_e64 v1, s0, s4, v1, s0
	global_load_dwordx4 v[9:12], v[0:1], off
	ds_read_b64 v[0:1], v8 offset:46664
	ds_read_b64 v[2:3], v31 offset:8
	s_waitcnt lgkmcnt(0)
	v_add_f64 v[4:5], v[0:1], v[2:3]
	v_add_f64 v[0:1], v[2:3], -v[0:1]
	s_waitcnt vmcnt(0)
	v_fma_f64 v[2:3], v[15:16], v[11:12], v[13:14]
	v_fma_f64 v[6:7], -v[15:16], v[11:12], v[13:14]
	v_fma_f64 v[13:14], v[4:5], v[11:12], -v[0:1]
	v_fma_f64 v[11:12], v[4:5], v[11:12], v[0:1]
	v_fma_f64 v[0:1], -v[4:5], v[9:10], v[2:3]
	v_fma_f64 v[4:5], v[4:5], v[9:10], v[6:7]
	v_fma_f64 v[6:7], v[15:16], v[9:10], v[13:14]
	;; [unrolled: 1-line block ×3, first 2 shown]
	ds_write_b128 v8, v[4:7] offset:46656
.LBB0_17:
	s_andn2_saveexec_b32 s0, s5
	s_cbranch_execz .LBB0_19
; %bb.18:
	v_mov_b32_e32 v9, 0
	ds_read_b128 v[4:7], v9 offset:23328
	s_waitcnt lgkmcnt(0)
	v_add_f64 v[4:5], v[4:5], v[4:5]
	v_mul_f64 v[6:7], v[6:7], -2.0
	ds_write_b128 v9, v[4:7] offset:23328
.LBB0_19:
	s_or_b32 exec_lo, exec_lo, s0
	v_add_nc_u32_e32 v26, 0xf3, v22
	v_mov_b32_e32 v27, 0
	v_add_nc_u32_e32 v28, 0x1e6, v22
	v_add_nc_u32_e32 v17, 0x3cc, v22
	ds_write_b128 v31, v[0:3]
	s_mov_b32 s7, 0xbfebb67a
	v_lshlrev_b64 v[4:5], 4, v[26:27]
	v_mov_b32_e32 v29, v27
	v_mov_b32_e32 v30, v27
	;; [unrolled: 1-line block ×5, first 2 shown]
	v_add_co_u32 v4, s0, s1, v4
	v_add_co_ci_u32_e64 v5, s0, s4, v5, s0
	v_lshlrev_b64 v[9:10], 4, v[28:29]
	v_add_nc_u32_e32 v29, 0x2d9, v22
	v_lshlrev_b64 v[17:18], 4, v[17:18]
	global_load_dwordx4 v[4:7], v[4:5], off
	v_add_co_u32 v9, s0, s1, v9
	v_add_co_ci_u32_e64 v10, s0, s4, v10, s0
	v_lshlrev_b64 v[13:14], 4, v[29:30]
	v_mov_b32_e32 v30, 0x240
	global_load_dwordx4 v[9:12], v[9:10], off
	v_add_co_u32 v13, s0, s1, v13
	v_add_co_ci_u32_e64 v14, s0, s4, v14, s0
	v_add_co_u32 v17, s0, s1, v17
	v_add_co_ci_u32_e64 v18, s0, s4, v18, s0
	global_load_dwordx4 v[13:16], v[13:14], off
	ds_read_b128 v[0:3], v31 offset:3888
	ds_read_b128 v[32:35], v8 offset:42768
	global_load_dwordx4 v[36:39], v[17:18], off
	s_waitcnt lgkmcnt(0)
	v_add_f64 v[17:18], v[0:1], v[32:33]
	v_add_f64 v[40:41], v[34:35], v[2:3]
	v_add_f64 v[42:43], v[0:1], -v[32:33]
	v_add_f64 v[0:1], v[2:3], -v[34:35]
	s_waitcnt vmcnt(3)
	v_fma_f64 v[2:3], v[42:43], v[6:7], v[17:18]
	v_fma_f64 v[32:33], v[40:41], v[6:7], v[0:1]
	v_fma_f64 v[17:18], -v[42:43], v[6:7], v[17:18]
	v_fma_f64 v[6:7], v[40:41], v[6:7], -v[0:1]
	v_fma_f64 v[0:1], -v[40:41], v[4:5], v[2:3]
	v_fma_f64 v[2:3], v[42:43], v[4:5], v[32:33]
	v_fma_f64 v[32:33], v[40:41], v[4:5], v[17:18]
	;; [unrolled: 1-line block ×3, first 2 shown]
	v_add_nc_u32_e32 v4, 0x4bf, v22
	v_mov_b32_e32 v5, v27
	ds_write_b128 v31, v[0:3] offset:3888
	ds_write_b128 v8, v[32:35] offset:42768
	v_lshlrev_b64 v[4:5], 4, v[4:5]
	v_add_co_u32 v17, s0, s1, v4
	v_add_co_ci_u32_e64 v18, s0, s4, v5, s0
	ds_read_b128 v[0:3], v31 offset:7776
	ds_read_b128 v[4:7], v8 offset:38880
	s_mov_b32 s4, 0xe8584caa
	s_mov_b32 s5, 0x3febb67a
	global_load_dwordx4 v[32:35], v[17:18], off
	s_mov_b32 s6, s4
	v_cmp_gt_u32_e64 s0, 0x51, v22
	s_waitcnt lgkmcnt(0)
	v_add_f64 v[17:18], v[0:1], v[4:5]
	v_add_f64 v[40:41], v[6:7], v[2:3]
	v_add_f64 v[42:43], v[0:1], -v[4:5]
	v_add_f64 v[0:1], v[2:3], -v[6:7]
	s_waitcnt vmcnt(3)
	v_fma_f64 v[2:3], v[42:43], v[11:12], v[17:18]
	v_fma_f64 v[4:5], v[40:41], v[11:12], v[0:1]
	v_fma_f64 v[6:7], -v[42:43], v[11:12], v[17:18]
	v_fma_f64 v[11:12], v[40:41], v[11:12], -v[0:1]
	v_fma_f64 v[0:1], -v[40:41], v[9:10], v[2:3]
	v_fma_f64 v[2:3], v[42:43], v[9:10], v[4:5]
	v_fma_f64 v[4:5], v[40:41], v[9:10], v[6:7]
	v_fma_f64 v[6:7], v[42:43], v[9:10], v[11:12]
	ds_write_b128 v31, v[0:3] offset:7776
	ds_write_b128 v8, v[4:7] offset:38880
	ds_read_b128 v[0:3], v31 offset:11664
	ds_read_b128 v[4:7], v8 offset:34992
	s_waitcnt lgkmcnt(0)
	v_add_f64 v[9:10], v[0:1], v[4:5]
	v_add_f64 v[11:12], v[6:7], v[2:3]
	v_add_f64 v[17:18], v[0:1], -v[4:5]
	v_add_f64 v[0:1], v[2:3], -v[6:7]
	s_waitcnt vmcnt(2)
	v_fma_f64 v[2:3], v[17:18], v[15:16], v[9:10]
	v_fma_f64 v[4:5], v[11:12], v[15:16], v[0:1]
	v_fma_f64 v[6:7], -v[17:18], v[15:16], v[9:10]
	v_fma_f64 v[9:10], v[11:12], v[15:16], -v[0:1]
	v_fma_f64 v[0:1], -v[11:12], v[13:14], v[2:3]
	v_fma_f64 v[2:3], v[17:18], v[13:14], v[4:5]
	v_fma_f64 v[4:5], v[11:12], v[13:14], v[6:7]
	v_fma_f64 v[6:7], v[17:18], v[13:14], v[9:10]
	ds_write_b128 v31, v[0:3] offset:11664
	ds_write_b128 v8, v[4:7] offset:34992
	ds_read_b128 v[0:3], v31 offset:15552
	ds_read_b128 v[4:7], v8 offset:31104
	;; [unrolled: 18-line block ×3, first 2 shown]
	s_waitcnt lgkmcnt(0)
	v_add_f64 v[9:10], v[0:1], v[4:5]
	v_add_f64 v[11:12], v[6:7], v[2:3]
	v_add_f64 v[13:14], v[0:1], -v[4:5]
	v_add_f64 v[0:1], v[2:3], -v[6:7]
	s_waitcnt vmcnt(0)
	v_fma_f64 v[2:3], v[13:14], v[34:35], v[9:10]
	v_fma_f64 v[4:5], v[11:12], v[34:35], v[0:1]
	v_fma_f64 v[6:7], -v[13:14], v[34:35], v[9:10]
	v_fma_f64 v[9:10], v[11:12], v[34:35], -v[0:1]
	v_fma_f64 v[0:1], -v[11:12], v[32:33], v[2:3]
	v_fma_f64 v[2:3], v[13:14], v[32:33], v[4:5]
	v_fma_f64 v[4:5], v[11:12], v[32:33], v[6:7]
	;; [unrolled: 1-line block ×3, first 2 shown]
	ds_write_b128 v31, v[0:3] offset:19440
	ds_write_b128 v8, v[4:7] offset:27216
	s_waitcnt lgkmcnt(0)
	s_barrier
	buffer_gl0_inv
	s_barrier
	buffer_gl0_inv
	ds_read_b128 v[9:12], v31 offset:23328
	ds_read_b128 v[0:3], v31 offset:38880
	;; [unrolled: 1-line block ×11, first 2 shown]
	ds_read_b128 v[68:71], v31
	v_and_b32_e32 v8, 0xff, v22
	s_waitcnt lgkmcnt(0)
	s_barrier
	buffer_gl0_inv
	v_mul_lo_u16 v19, 0xab, v8
	v_add_f64 v[4:5], v[11:12], v[2:3]
	v_add_f64 v[6:7], v[9:10], v[0:1]
	;; [unrolled: 1-line block ×4, first 2 shown]
	v_add_f64 v[17:18], v[11:12], -v[2:3]
	v_add_f64 v[72:73], v[9:10], -v[0:1]
	;; [unrolled: 1-line block ×4, first 2 shown]
	v_add_f64 v[82:83], v[56:57], v[60:61]
	v_add_f64 v[84:85], v[58:59], v[62:63]
	;; [unrolled: 1-line block ×8, first 2 shown]
	v_add_f64 v[58:59], v[58:59], -v[62:63]
	v_add_f64 v[56:57], v[56:57], -v[60:61]
	v_fma_f64 v[74:75], v[4:5], -0.5, v[50:51]
	v_fma_f64 v[6:7], v[6:7], -0.5, v[48:49]
	;; [unrolled: 1-line block ×4, first 2 shown]
	v_add_f64 v[48:49], v[40:41], v[44:45]
	v_add_f64 v[50:51], v[42:43], v[46:47]
	v_lshrrev_b16 v5, 10, v19
	v_mov_b32_e32 v16, 5
	v_fma_f64 v[52:53], v[82:83], -0.5, v[68:69]
	v_fma_f64 v[54:55], v[84:85], -0.5, v[70:71]
	v_add_f64 v[9:10], v[9:10], v[0:1]
	v_add_f64 v[11:12], v[11:12], v[2:3]
	v_add_f64 v[60:61], v[90:91], v[60:61]
	v_add_f64 v[62:63], v[92:93], v[62:63]
	v_add_f64 v[36:37], v[36:37], v[32:33]
	v_add_f64 v[38:39], v[38:39], v[34:35]
	v_mul_lo_u16 v4, v5, 6
	v_mov_b32_e32 v19, 0xe38f
	v_mul_u32_u24_sdwa v5, v5, v30 dst_sel:DWORD dst_unused:UNUSED_PAD src0_sel:WORD_0 src1_sel:DWORD
	v_sub_nc_u16 v4, v22, v4
	v_fma_f64 v[86:87], v[72:73], s[6:7], v[74:75]
	v_fma_f64 v[88:89], v[17:18], s[4:5], v[6:7]
	;; [unrolled: 1-line block ×8, first 2 shown]
	v_add_f64 v[78:79], v[64:65], v[40:41]
	v_add_f64 v[80:81], v[66:67], v[42:43]
	v_add_f64 v[42:43], v[42:43], -v[46:47]
	v_add_f64 v[40:41], v[40:41], -v[44:45]
	v_fma_f64 v[48:49], v[48:49], -0.5, v[64:65]
	v_fma_f64 v[50:51], v[50:51], -0.5, v[66:67]
	v_add_f64 v[0:1], v[60:61], v[9:10]
	v_add_f64 v[2:3], v[62:63], v[11:12]
	v_add_f64 v[9:10], v[60:61], -v[9:10]
	v_add_f64 v[11:12], v[62:63], -v[11:12]
	v_mul_u32_u24_sdwa v100, v26, v19 dst_sel:DWORD dst_unused:UNUSED_PAD src0_sel:WORD_0 src1_sel:DWORD
	v_mul_f64 v[68:69], v[86:87], s[4:5]
	v_mul_f64 v[70:71], v[88:89], s[6:7]
	v_mul_f64 v[82:83], v[6:7], -0.5
	v_mul_f64 v[84:85], v[17:18], -0.5
	v_mul_f64 v[64:65], v[72:73], s[4:5]
	v_mul_f64 v[66:67], v[74:75], s[6:7]
	v_mul_f64 v[90:91], v[76:77], -0.5
	v_mul_f64 v[92:93], v[13:14], -0.5
	v_add_f64 v[44:45], v[78:79], v[44:45]
	v_add_f64 v[46:47], v[80:81], v[46:47]
	v_fma_f64 v[78:79], v[58:59], s[4:5], v[52:53]
	v_fma_f64 v[80:81], v[56:57], s[6:7], v[54:55]
	;; [unrolled: 1-line block ×4, first 2 shown]
	v_fma_f64 v[68:69], v[88:89], 0.5, v[68:69]
	v_fma_f64 v[70:71], v[86:87], 0.5, v[70:71]
	v_fma_f64 v[17:18], v[17:18], s[4:5], v[82:83]
	v_fma_f64 v[6:7], v[6:7], s[6:7], v[84:85]
	;; [unrolled: 1-line block ×4, first 2 shown]
	v_fma_f64 v[64:65], v[74:75], 0.5, v[64:65]
	v_fma_f64 v[66:67], v[72:73], 0.5, v[66:67]
	v_fma_f64 v[72:73], v[42:43], s[6:7], v[48:49]
	v_fma_f64 v[74:75], v[40:41], s[4:5], v[50:51]
	;; [unrolled: 1-line block ×4, first 2 shown]
	v_add_f64 v[32:33], v[44:45], v[36:37]
	v_add_f64 v[34:35], v[46:47], v[38:39]
	v_add_f64 v[36:37], v[44:45], -v[36:37]
	v_add_f64 v[38:39], v[46:47], -v[38:39]
	v_add_f64 v[40:41], v[78:79], v[68:69]
	v_add_f64 v[42:43], v[80:81], v[70:71]
	;; [unrolled: 1-line block ×4, first 2 shown]
	v_add_f64 v[44:45], v[78:79], -v[68:69]
	v_add_f64 v[46:47], v[80:81], -v[70:71]
	;; [unrolled: 1-line block ×4, first 2 shown]
	v_add_f64 v[56:57], v[82:83], v[64:65]
	v_add_f64 v[58:59], v[84:85], v[66:67]
	v_add_f64 v[60:61], v[82:83], -v[64:65]
	v_add_f64 v[62:63], v[84:85], -v[66:67]
	v_add_f64 v[64:65], v[72:73], v[13:14]
	v_add_f64 v[66:67], v[74:75], v[76:77]
	v_add_f64 v[68:69], v[72:73], -v[13:14]
	v_add_f64 v[70:71], v[74:75], -v[76:77]
	v_mul_u32_u24_sdwa v6, v4, v16 dst_sel:DWORD dst_unused:UNUSED_PAD src0_sel:BYTE_0 src1_sel:DWORD
	v_mad_u32_u24 v7, 0x50, v22, v31
	ds_write_b128 v7, v[0:3]
	ds_write_b128 v7, v[9:12] offset:48
	ds_write_b128 v7, v[32:35] offset:23328
	;; [unrolled: 1-line block ×11, first 2 shown]
	v_lshlrev_b32_e32 v13, 4, v6
	s_waitcnt lgkmcnt(0)
	s_barrier
	buffer_gl0_inv
	v_mov_b32_e32 v0, 0xaaab
	s_clause 0x2
	global_load_dwordx4 v[9:12], v13, s[12:13]
	global_load_dwordx4 v[32:35], v13, s[12:13] offset:16
	global_load_dwordx4 v[36:39], v13, s[12:13] offset:32
	v_lshlrev_b32_sdwa v4, v23, v4 dst_sel:DWORD dst_unused:UNUSED_PAD src0_sel:DWORD src1_sel:BYTE_0
	v_mul_u32_u24_sdwa v0, v26, v0 dst_sel:DWORD dst_unused:UNUSED_PAD src0_sel:WORD_0 src1_sel:DWORD
	v_add3_u32 v4, 0, v5, v4
	v_lshrrev_b32_e32 v7, 18, v0
	v_mul_lo_u16 v0, v7, 6
	v_mul_u32_u24_e32 v7, 0x240, v7
	v_sub_nc_u16 v6, v26, v0
	v_mul_u32_u24_sdwa v0, v6, v16 dst_sel:DWORD dst_unused:UNUSED_PAD src0_sel:WORD_0 src1_sel:DWORD
	v_lshlrev_b32_sdwa v6, v23, v6 dst_sel:DWORD dst_unused:UNUSED_PAD src0_sel:DWORD src1_sel:WORD_0
	v_lshlrev_b32_e32 v0, 4, v0
	s_clause 0x6
	global_load_dwordx4 v[40:43], v13, s[12:13] offset:64
	global_load_dwordx4 v[44:47], v0, s[12:13] offset:32
	;; [unrolled: 1-line block ×4, first 2 shown]
	global_load_dwordx4 v[56:59], v0, s[12:13]
	global_load_dwordx4 v[60:63], v0, s[12:13] offset:16
	global_load_dwordx4 v[64:67], v0, s[12:13] offset:48
	ds_read_b128 v[68:71], v31 offset:7776
	ds_read_b128 v[72:75], v31 offset:15552
	;; [unrolled: 1-line block ×3, first 2 shown]
	v_add3_u32 v5, 0, v7, v6
	s_waitcnt vmcnt(9) lgkmcnt(2)
	v_mul_f64 v[17:18], v[70:71], v[11:12]
	v_mul_f64 v[88:89], v[68:69], v[11:12]
	ds_read_b128 v[11:14], v31 offset:23328
	ds_read_b128 v[76:79], v31 offset:11664
	s_waitcnt vmcnt(8) lgkmcnt(3)
	v_mul_f64 v[90:91], v[74:75], v[34:35]
	ds_read_b128 v[80:83], v31 offset:38880
	ds_read_b128 v[84:87], v31 offset:19440
	v_mul_f64 v[34:35], v[72:73], v[34:35]
	v_fma_f64 v[17:18], v[68:69], v[9:10], -v[17:18]
	v_fma_f64 v[88:89], v[70:71], v[9:10], v[88:89]
	s_waitcnt vmcnt(7) lgkmcnt(3)
	v_mul_f64 v[9:10], v[13:14], v[38:39]
	ds_read_b128 v[68:71], v31 offset:27216
	v_mul_f64 v[38:39], v[11:12], v[38:39]
	v_fma_f64 v[72:73], v[72:73], v[32:33], -v[90:91]
	s_waitcnt vmcnt(6) lgkmcnt(2)
	v_mul_f64 v[90:91], v[82:83], v[42:43]
	v_mul_f64 v[42:43], v[80:81], v[42:43]
	v_fma_f64 v[74:75], v[74:75], v[32:33], v[34:35]
	ds_read_b128 v[32:35], v31 offset:34992
	s_waitcnt vmcnt(5) lgkmcnt(1)
	v_mul_f64 v[94:95], v[70:71], v[46:47]
	v_mul_f64 v[46:47], v[68:69], v[46:47]
	v_fma_f64 v[92:93], v[11:12], v[36:37], -v[9:10]
	ds_read_b128 v[9:12], v31 offset:42768
	v_fma_f64 v[13:14], v[13:14], v[36:37], v[38:39]
	v_fma_f64 v[80:81], v[80:81], v[40:41], -v[90:91]
	v_fma_f64 v[82:83], v[82:83], v[40:41], v[42:43]
	ds_read_b128 v[36:39], v31 offset:31104
	ds_read_b128 v[40:43], v31
	s_waitcnt vmcnt(0) lgkmcnt(3)
	v_mul_f64 v[90:91], v[34:35], v[66:67]
	v_mul_f64 v[66:67], v[32:33], v[66:67]
	s_waitcnt lgkmcnt(0)
	s_barrier
	buffer_gl0_inv
	v_fma_f64 v[68:69], v[68:69], v[44:45], -v[94:95]
	v_fma_f64 v[44:45], v[70:71], v[44:45], v[46:47]
	v_mul_f64 v[46:47], v[11:12], v[50:51]
	v_mul_f64 v[50:51], v[9:10], v[50:51]
	;; [unrolled: 1-line block ×4, first 2 shown]
	v_fma_f64 v[32:33], v[32:33], v[64:65], -v[90:91]
	v_fma_f64 v[34:35], v[34:35], v[64:65], v[66:67]
	v_fma_f64 v[46:47], v[9:10], v[48:49], -v[46:47]
	v_fma_f64 v[10:11], v[11:12], v[48:49], v[50:51]
	v_mul_f64 v[48:49], v[78:79], v[58:59]
	v_mul_f64 v[50:51], v[76:77], v[58:59]
	;; [unrolled: 1-line block ×3, first 2 shown]
	v_fma_f64 v[36:37], v[36:37], v[52:53], -v[70:71]
	v_fma_f64 v[38:39], v[38:39], v[52:53], v[54:55]
	v_mul_f64 v[52:53], v[84:85], v[62:63]
	v_add_f64 v[54:55], v[13:14], v[82:83]
	v_add_f64 v[62:63], v[92:93], v[80:81]
	v_mul_lo_u16 v9, v8, 57
	v_mul_lo_u16 v8, v8, 19
	v_lshrrev_b16 v9, 11, v9
	v_mul_lo_u16 v30, v9, 36
	v_add_f64 v[66:67], v[68:69], -v[46:47]
	v_add_f64 v[70:71], v[44:45], v[10:11]
	v_fma_f64 v[48:49], v[76:77], v[56:57], -v[48:49]
	v_fma_f64 v[50:51], v[78:79], v[56:57], v[50:51]
	v_add_f64 v[56:57], v[68:69], v[46:47]
	v_fma_f64 v[58:59], v[84:85], v[60:61], -v[58:59]
	v_add_f64 v[76:77], v[13:14], -v[82:83]
	v_fma_f64 v[52:53], v[86:87], v[60:61], v[52:53]
	v_add_f64 v[60:61], v[92:93], -v[80:81]
	v_fma_f64 v[54:55], v[54:55], -0.5, v[88:89]
	v_fma_f64 v[62:63], v[62:63], -0.5, v[17:18]
	v_add_f64 v[64:65], v[44:45], -v[10:11]
	v_add_f64 v[78:79], v[72:73], v[36:37]
	v_add_f64 v[84:85], v[74:75], v[38:39]
	;; [unrolled: 1-line block ×5, first 2 shown]
	v_add_f64 v[72:73], v[72:73], -v[36:37]
	v_add_f64 v[14:15], v[48:49], v[68:69]
	v_fma_f64 v[70:71], v[70:71], -0.5, v[50:51]
	v_fma_f64 v[56:57], v[56:57], -0.5, v[48:49]
	v_add_f64 v[90:91], v[58:59], v[32:33]
	v_add_f64 v[44:45], v[50:51], v[44:45]
	;; [unrolled: 1-line block ×4, first 2 shown]
	v_fma_f64 v[48:49], v[60:61], s[6:7], v[54:55]
	v_fma_f64 v[68:69], v[76:77], s[4:5], v[62:63]
	;; [unrolled: 1-line block ×4, first 2 shown]
	v_add_f64 v[76:77], v[42:43], v[74:75]
	v_add_f64 v[74:75], v[74:75], -v[38:39]
	v_fma_f64 v[40:41], v[78:79], -0.5, v[40:41]
	v_fma_f64 v[42:43], v[84:85], -0.5, v[42:43]
	v_add_f64 v[36:37], v[86:87], v[36:37]
	v_add_f64 v[52:53], v[52:53], -v[34:35]
	v_add_f64 v[17:18], v[17:18], v[80:81]
	v_add_f64 v[12:13], v[12:13], v[82:83]
	;; [unrolled: 1-line block ×3, first 2 shown]
	v_fma_f64 v[60:61], v[64:65], s[4:5], v[56:57]
	v_fma_f64 v[56:57], v[64:65], s[6:7], v[56:57]
	;; [unrolled: 1-line block ×4, first 2 shown]
	v_fma_f64 v[2:3], v[88:89], -0.5, v[2:3]
	v_mul_f64 v[78:79], v[48:49], s[4:5]
	v_mul_f64 v[84:85], v[68:69], s[6:7]
	v_mul_f64 v[86:87], v[62:63], -0.5
	v_mul_f64 v[88:89], v[54:55], -0.5
	v_add_f64 v[70:71], v[0:1], v[58:59]
	v_add_f64 v[58:59], v[58:59], -v[32:33]
	v_fma_f64 v[0:1], v[90:91], -0.5, v[0:1]
	v_add_f64 v[38:39], v[76:77], v[38:39]
	v_add_f64 v[50:51], v[50:51], v[34:35]
	;; [unrolled: 1-line block ×3, first 2 shown]
	v_fma_f64 v[92:93], v[74:75], s[4:5], v[40:41]
	v_fma_f64 v[94:95], v[72:73], s[6:7], v[42:43]
	;; [unrolled: 1-line block ×4, first 2 shown]
	v_sub_nc_u16 v10, v22, v30
	v_mov_b32_e32 v30, 0x6c0
	v_mul_f64 v[80:81], v[60:61], s[6:7]
	v_mul_f64 v[82:83], v[56:57], -0.5
	v_mul_f64 v[76:77], v[64:65], s[4:5]
	v_mul_f64 v[90:91], v[66:67], -0.5
	v_mul_u32_u24_sdwa v30, v9, v30 dst_sel:DWORD dst_unused:UNUSED_PAD src0_sel:WORD_0 src1_sel:DWORD
	v_fma_f64 v[68:69], v[68:69], 0.5, v[78:79]
	v_fma_f64 v[78:79], v[48:49], 0.5, v[84:85]
	v_fma_f64 v[86:87], v[54:55], s[4:5], v[86:87]
	v_fma_f64 v[62:63], v[62:63], s[6:7], v[88:89]
	v_add_f64 v[70:71], v[70:71], v[32:33]
	v_fma_f64 v[96:97], v[58:59], s[6:7], v[2:3]
	v_fma_f64 v[84:85], v[52:53], s[4:5], v[0:1]
	;; [unrolled: 1-line block ×4, first 2 shown]
	v_add_f64 v[0:1], v[36:37], v[17:18]
	v_add_f64 v[2:3], v[38:39], v[12:13]
	v_add_f64 v[32:33], v[36:37], -v[17:18]
	v_add_f64 v[34:35], v[38:39], -v[12:13]
	v_add_f64 v[38:39], v[50:51], v[44:45]
	v_add_f64 v[42:43], v[50:51], -v[44:45]
	v_lshrrev_b32_e32 v12, 21, v100
	v_lshlrev_b32_sdwa v13, v16, v10 dst_sel:DWORD dst_unused:UNUSED_PAD src0_sel:DWORD src1_sel:BYTE_0
	v_fma_f64 v[80:81], v[64:65], 0.5, v[80:81]
	v_fma_f64 v[82:83], v[66:67], s[4:5], v[82:83]
	v_fma_f64 v[76:77], v[60:61], 0.5, v[76:77]
	v_fma_f64 v[90:91], v[56:57], s[6:7], v[90:91]
	v_lshlrev_b32_sdwa v108, v23, v10 dst_sel:DWORD dst_unused:UNUSED_PAD src0_sel:DWORD src1_sel:BYTE_0
	v_add_f64 v[44:45], v[92:93], v[68:69]
	v_add_f64 v[46:47], v[94:95], v[78:79]
	;; [unrolled: 1-line block ×4, first 2 shown]
	v_add_f64 v[48:49], v[92:93], -v[68:69]
	v_add_f64 v[50:51], v[94:95], -v[78:79]
	;; [unrolled: 1-line block ×4, first 2 shown]
	v_add_f64 v[36:37], v[70:71], v[14:15]
	v_add_f64 v[40:41], v[70:71], -v[14:15]
	v_add3_u32 v30, 0, v30, v108
	v_add_f64 v[62:63], v[96:97], v[80:81]
	v_add_f64 v[68:69], v[88:89], v[82:83]
	;; [unrolled: 1-line block ×4, first 2 shown]
	v_add_f64 v[64:65], v[84:85], -v[76:77]
	v_add_f64 v[66:67], v[96:97], -v[80:81]
	;; [unrolled: 1-line block ×4, first 2 shown]
	ds_write_b128 v4, v[0:3]
	ds_write_b128 v4, v[32:35] offset:288
	ds_write_b128 v4, v[44:47] offset:96
	;; [unrolled: 1-line block ×5, first 2 shown]
	ds_write_b128 v5, v[36:39]
	ds_write_b128 v5, v[60:63] offset:96
	ds_write_b128 v5, v[68:71] offset:192
	;; [unrolled: 1-line block ×5, first 2 shown]
	v_mul_lo_u16 v0, v12, 36
	s_waitcnt lgkmcnt(0)
	s_barrier
	buffer_gl0_inv
	global_load_dwordx4 v[32:35], v13, s[12:13] offset:480
	v_sub_nc_u16 v11, v26, v0
	v_mul_u32_u24_sdwa v0, v28, v19 dst_sel:DWORD dst_unused:UNUSED_PAD src0_sel:WORD_0 src1_sel:DWORD
	global_load_dwordx4 v[36:39], v13, s[12:13] offset:496
	v_mul_u32_u24_sdwa v2, v29, v19 dst_sel:DWORD dst_unused:UNUSED_PAD src0_sel:WORD_0 src1_sel:DWORD
	v_mul_u32_u24_e32 v12, 0x6c0, v12
	v_lshlrev_b32_sdwa v1, v16, v11 dst_sel:DWORD dst_unused:UNUSED_PAD src0_sel:DWORD src1_sel:WORD_0
	v_lshrrev_b32_e32 v15, 21, v0
	v_lshlrev_b32_sdwa v109, v23, v11 dst_sel:DWORD dst_unused:UNUSED_PAD src0_sel:DWORD src1_sel:WORD_0
	v_lshrrev_b32_e32 v17, 21, v2
	global_load_dwordx4 v[40:43], v1, s[12:13] offset:480
	v_mul_lo_u16 v0, v15, 36
	v_mul_u32_u24_e32 v15, 0x6c0, v15
	v_mul_u32_u24_e32 v107, 0x6c0, v17
	v_add3_u32 v12, 0, v12, v109
	v_sub_nc_u16 v13, v28, v0
	v_lshlrev_b32_sdwa v0, v16, v13 dst_sel:DWORD dst_unused:UNUSED_PAD src0_sel:DWORD src1_sel:WORD_0
	s_clause 0x1
	global_load_dwordx4 v[44:47], v1, s[12:13] offset:496
	global_load_dwordx4 v[48:51], v0, s[12:13] offset:480
	v_mul_lo_u16 v1, v17, 36
	global_load_dwordx4 v[52:55], v0, s[12:13] offset:496
	v_lshlrev_b32_sdwa v13, v23, v13 dst_sel:DWORD dst_unused:UNUSED_PAD src0_sel:DWORD src1_sel:WORD_0
	v_sub_nc_u16 v14, v29, v1
	v_add3_u32 v13, 0, v15, v13
	v_lshlrev_b32_sdwa v4, v16, v14 dst_sel:DWORD dst_unused:UNUSED_PAD src0_sel:DWORD src1_sel:WORD_0
	s_clause 0x1
	global_load_dwordx4 v[0:3], v4, s[12:13] offset:480
	global_load_dwordx4 v[4:7], v4, s[12:13] offset:496
	ds_read_b128 v[56:59], v31 offset:15552
	ds_read_b128 v[60:63], v31 offset:31104
	;; [unrolled: 1-line block ×7, first 2 shown]
	v_lshlrev_b32_sdwa v14, v23, v14 dst_sel:DWORD dst_unused:UNUSED_PAD src0_sel:DWORD src1_sel:WORD_0
	v_add3_u32 v14, 0, v107, v14
	s_waitcnt vmcnt(7) lgkmcnt(6)
	v_mul_f64 v[18:19], v[58:59], v[34:35]
	v_mul_f64 v[34:35], v[56:57], v[34:35]
	s_waitcnt vmcnt(6) lgkmcnt(5)
	v_mul_f64 v[84:85], v[62:63], v[38:39]
	v_mul_f64 v[38:39], v[60:61], v[38:39]
	;; [unrolled: 3-line block ×3, first 2 shown]
	v_fma_f64 v[56:57], v[56:57], v[32:33], -v[18:19]
	v_fma_f64 v[58:59], v[58:59], v[32:33], v[34:35]
	ds_read_b128 v[32:35], v31 offset:38880
	s_waitcnt vmcnt(4) lgkmcnt(3)
	v_mul_f64 v[18:19], v[74:75], v[46:47]
	v_fma_f64 v[60:61], v[60:61], v[36:37], -v[84:85]
	v_fma_f64 v[62:63], v[62:63], v[36:37], v[38:39]
	ds_read_b128 v[36:39], v31 offset:42768
	v_mul_f64 v[46:47], v[72:73], v[46:47]
	v_fma_f64 v[64:65], v[64:65], v[40:41], -v[86:87]
	v_fma_f64 v[66:67], v[66:67], v[40:41], v[42:43]
	ds_read_b128 v[40:43], v31
	s_waitcnt vmcnt(1) lgkmcnt(4)
	v_mul_f64 v[88:89], v[78:79], v[2:3]
	v_mul_f64 v[2:3], v[76:77], v[2:3]
	s_waitcnt lgkmcnt(2)
	v_mul_f64 v[86:87], v[34:35], v[54:55]
	v_mul_f64 v[54:55], v[32:33], v[54:55]
	v_fma_f64 v[72:73], v[72:73], v[44:45], -v[18:19]
	s_waitcnt vmcnt(0) lgkmcnt(1)
	v_mul_f64 v[18:19], v[38:39], v[6:7]
	v_mul_f64 v[6:7], v[36:37], v[6:7]
	v_fma_f64 v[44:45], v[74:75], v[44:45], v[46:47]
	v_add_f64 v[74:75], v[58:59], v[62:63]
	v_fma_f64 v[32:33], v[32:33], v[52:53], -v[86:87]
	v_fma_f64 v[34:35], v[34:35], v[52:53], v[54:55]
	v_fma_f64 v[52:53], v[78:79], v[0:1], v[2:3]
	v_add_f64 v[54:55], v[56:57], v[60:61]
	v_fma_f64 v[36:37], v[36:37], v[4:5], -v[18:19]
	v_fma_f64 v[38:39], v[38:39], v[4:5], v[6:7]
	ds_read_b128 v[4:7], v31 offset:7776
	v_mul_f64 v[84:85], v[82:83], v[50:51]
	v_mul_f64 v[50:51], v[80:81], v[50:51]
	v_add_f64 v[78:79], v[66:67], v[44:45]
	v_lshrrev_b16 v18, 11, v8
	v_mul_lo_u16 v98, 0x6c, v18
	v_sub_nc_u16 v17, v22, v98
	v_add_f64 v[94:95], v[70:71], v[52:53]
	v_add_f64 v[102:103], v[52:53], -v[38:39]
	v_fma_f64 v[46:47], v[80:81], v[48:49], -v[84:85]
	v_fma_f64 v[48:49], v[82:83], v[48:49], v[50:51]
	v_fma_f64 v[50:51], v[76:77], v[0:1], -v[88:89]
	ds_read_b128 v[0:3], v31 offset:3888
	v_add_f64 v[76:77], v[64:65], v[72:73]
	v_lshrrev_b16 v84, 2, v26
	s_waitcnt lgkmcnt(2)
	v_add_f64 v[8:9], v[42:43], v[58:59]
	v_fma_f64 v[42:43], v[74:75], -0.5, v[42:43]
	v_add_f64 v[74:75], v[52:53], v[38:39]
	v_add_f64 v[58:59], v[58:59], -v[62:63]
	v_mul_u32_u24_sdwa v19, v84, v106 dst_sel:DWORD dst_unused:UNUSED_PAD src0_sel:WORD_0 src1_sel:DWORD
	v_add_f64 v[84:85], v[40:41], v[56:57]
	v_fma_f64 v[40:41], v[54:55], -0.5, v[40:41]
	v_add_f64 v[56:57], v[56:57], -v[60:61]
	s_waitcnt lgkmcnt(0)
	v_lshrrev_b32_e32 v19, 19, v19
	s_barrier
	buffer_gl0_inv
	v_add_f64 v[80:81], v[46:47], v[32:33]
	v_add_f64 v[82:83], v[48:49], v[34:35]
	;; [unrolled: 1-line block ×8, first 2 shown]
	v_fma_f64 v[76:77], v[76:77], -0.5, v[0:1]
	v_fma_f64 v[78:79], v[78:79], -0.5, v[2:3]
	v_add_f64 v[66:67], v[66:67], -v[44:45]
	v_add_f64 v[64:65], v[64:65], -v[72:73]
	;; [unrolled: 1-line block ×5, first 2 shown]
	v_fma_f64 v[70:71], v[74:75], -0.5, v[70:71]
	v_add_f64 v[2:3], v[8:9], v[62:63]
	v_add_f64 v[0:1], v[84:85], v[60:61]
	v_fma_f64 v[80:81], v[80:81], -0.5, v[4:5]
	v_fma_f64 v[82:83], v[82:83], -0.5, v[6:7]
	;; [unrolled: 1-line block ×3, first 2 shown]
	v_add_f64 v[10:11], v[90:91], v[34:35]
	v_add_f64 v[8:9], v[92:93], v[32:33]
	;; [unrolled: 1-line block ×4, first 2 shown]
	v_fma_f64 v[36:37], v[58:59], s[4:5], v[40:41]
	v_fma_f64 v[38:39], v[56:57], s[6:7], v[42:43]
	;; [unrolled: 1-line block ×4, first 2 shown]
	v_add_f64 v[6:7], v[86:87], v[44:45]
	v_add_f64 v[4:5], v[88:89], v[72:73]
	v_fma_f64 v[44:45], v[66:67], s[4:5], v[76:77]
	v_fma_f64 v[46:47], v[64:65], s[6:7], v[78:79]
	v_fma_f64 v[48:49], v[66:67], s[6:7], v[76:77]
	v_fma_f64 v[50:51], v[64:65], s[4:5], v[78:79]
	v_fma_f64 v[62:63], v[104:105], s[6:7], v[70:71]
	v_fma_f64 v[66:67], v[104:105], s[4:5], v[70:71]
	v_mov_b32_e32 v88, 0x1440
	v_fma_f64 v[52:53], v[98:99], s[4:5], v[80:81]
	v_fma_f64 v[54:55], v[100:101], s[6:7], v[82:83]
	;; [unrolled: 1-line block ×6, first 2 shown]
	v_lshlrev_b32_sdwa v68, v16, v17 dst_sel:DWORD dst_unused:UNUSED_PAD src0_sel:DWORD src1_sel:BYTE_0
	ds_write_b128 v30, v[0:3]
	ds_write_b128 v30, v[36:39] offset:576
	ds_write_b128 v30, v[40:43] offset:1152
	ds_write_b128 v12, v[4:7]
	ds_write_b128 v12, v[44:47] offset:576
	ds_write_b128 v12, v[48:51] offset:1152
	;; [unrolled: 3-line block ×4, first 2 shown]
	v_lshrrev_b16 v0, 2, v28
	v_mul_lo_u16 v1, 0x6c, v19
	s_waitcnt lgkmcnt(0)
	s_barrier
	buffer_gl0_inv
	global_load_dwordx4 v[36:39], v68, s[12:13] offset:1632
	v_mul_u32_u24_sdwa v0, v0, v106 dst_sel:DWORD dst_unused:UNUSED_PAD src0_sel:WORD_0 src1_sel:DWORD
	global_load_dwordx4 v[40:43], v68, s[12:13] offset:1648
	v_sub_nc_u16 v30, v26, v1
	v_lshrrev_b16 v1, 2, v29
	v_mul_u32_u24_sdwa v102, v18, v88 dst_sel:DWORD dst_unused:UNUSED_PAD src0_sel:WORD_0 src1_sel:DWORD
	v_lshrrev_b32_e32 v32, 19, v0
	v_mul_u32_u24_e32 v103, 0x1440, v19
	v_lshlrev_b32_sdwa v0, v16, v30 dst_sel:DWORD dst_unused:UNUSED_PAD src0_sel:DWORD src1_sel:WORD_0
	v_mul_u32_u24_sdwa v1, v1, v106 dst_sel:DWORD dst_unused:UNUSED_PAD src0_sel:WORD_0 src1_sel:DWORD
	v_lshlrev_b32_sdwa v106, v23, v17 dst_sel:DWORD dst_unused:UNUSED_PAD src0_sel:DWORD src1_sel:BYTE_0
	v_mul_lo_u16 v2, 0x6c, v32
	v_mul_u32_u24_e32 v104, 0x1440, v32
	global_load_dwordx4 v[44:47], v0, s[12:13] offset:1632
	v_lshrrev_b32_e32 v35, 19, v1
	v_lshlrev_b32_sdwa v30, v23, v30 dst_sel:DWORD dst_unused:UNUSED_PAD src0_sel:DWORD src1_sel:WORD_0
	v_sub_nc_u16 v33, v28, v2
	v_add3_u32 v30, 0, v103, v30
	v_lshlrev_b32_sdwa v1, v16, v33 dst_sel:DWORD dst_unused:UNUSED_PAD src0_sel:DWORD src1_sel:WORD_0
	s_clause 0x1
	global_load_dwordx4 v[48:51], v0, s[12:13] offset:1648
	global_load_dwordx4 v[52:55], v1, s[12:13] offset:1632
	v_mul_lo_u16 v0, 0x6c, v35
	v_mul_u32_u24_e32 v35, 0x1440, v35
	v_lshlrev_b32_sdwa v33, v23, v33 dst_sel:DWORD dst_unused:UNUSED_PAD src0_sel:DWORD src1_sel:WORD_0
	v_sub_nc_u16 v34, v29, v0
	v_add3_u32 v33, 0, v104, v33
	v_lshlrev_b32_sdwa v8, v16, v34 dst_sel:DWORD dst_unused:UNUSED_PAD src0_sel:DWORD src1_sel:WORD_0
	s_clause 0x2
	global_load_dwordx4 v[0:3], v1, s[12:13] offset:1648
	global_load_dwordx4 v[4:7], v8, s[12:13] offset:1632
	;; [unrolled: 1-line block ×3, first 2 shown]
	ds_read_b128 v[56:59], v31 offset:15552
	ds_read_b128 v[60:63], v31 offset:31104
	;; [unrolled: 1-line block ×7, first 2 shown]
	v_lshlrev_b32_sdwa v34, v23, v34 dst_sel:DWORD dst_unused:UNUSED_PAD src0_sel:DWORD src1_sel:WORD_0
	v_add3_u32 v34, 0, v35, v34
	s_waitcnt vmcnt(7) lgkmcnt(6)
	v_mul_f64 v[80:81], v[58:59], v[38:39]
	v_mul_f64 v[38:39], v[56:57], v[38:39]
	s_waitcnt vmcnt(6) lgkmcnt(5)
	v_mul_f64 v[82:83], v[62:63], v[42:43]
	v_mul_f64 v[42:43], v[60:61], v[42:43]
	;; [unrolled: 3-line block ×3, first 2 shown]
	v_fma_f64 v[56:57], v[56:57], v[36:37], -v[80:81]
	v_fma_f64 v[58:59], v[58:59], v[36:37], v[38:39]
	ds_read_b128 v[36:39], v31 offset:38880
	s_waitcnt vmcnt(4) lgkmcnt(3)
	v_mul_f64 v[80:81], v[70:71], v[50:51]
	v_mul_f64 v[50:51], v[68:69], v[50:51]
	v_fma_f64 v[60:61], v[60:61], v[40:41], -v[82:83]
	v_fma_f64 v[62:63], v[62:63], v[40:41], v[42:43]
	ds_read_b128 v[40:43], v31 offset:42768
	v_fma_f64 v[64:65], v[64:65], v[44:45], -v[84:85]
	v_fma_f64 v[66:67], v[66:67], v[44:45], v[46:47]
	ds_read_b128 v[44:47], v31
	s_waitcnt vmcnt(3) lgkmcnt(3)
	v_mul_f64 v[82:83], v[78:79], v[54:55]
	v_mul_f64 v[54:55], v[76:77], v[54:55]
	s_waitcnt vmcnt(1)
	v_mul_f64 v[86:87], v[74:75], v[6:7]
	v_mul_f64 v[6:7], v[72:73], v[6:7]
	s_waitcnt lgkmcnt(2)
	v_mul_f64 v[84:85], v[38:39], v[2:3]
	v_mul_f64 v[2:3], v[36:37], v[2:3]
	v_fma_f64 v[68:69], v[68:69], v[48:49], -v[80:81]
	v_fma_f64 v[48:49], v[70:71], v[48:49], v[50:51]
	s_waitcnt vmcnt(0) lgkmcnt(1)
	v_mul_f64 v[50:51], v[42:43], v[10:11]
	v_mul_f64 v[10:11], v[40:41], v[10:11]
	v_fma_f64 v[70:71], v[76:77], v[52:53], -v[82:83]
	v_fma_f64 v[52:53], v[78:79], v[52:53], v[54:55]
	v_mov_b32_e32 v78, 0x6523
	v_fma_f64 v[72:73], v[72:73], v[4:5], -v[86:87]
	v_fma_f64 v[74:75], v[74:75], v[4:5], v[6:7]
	v_add_f64 v[82:83], v[58:59], v[62:63]
	v_lshlrev_b32_e32 v54, 1, v22
	v_mul_u32_u24_sdwa v80, v28, v78 dst_sel:DWORD dst_unused:UNUSED_PAD src0_sel:WORD_0 src1_sel:DWORD
	v_mul_u32_u24_sdwa v81, v29, v78 dst_sel:DWORD dst_unused:UNUSED_PAD src0_sel:WORD_0 src1_sel:DWORD
	v_fma_f64 v[78:79], v[36:37], v[0:1], -v[84:85]
	v_fma_f64 v[38:39], v[38:39], v[0:1], v[2:3]
	v_fma_f64 v[40:41], v[40:41], v[8:9], -v[50:51]
	v_lshrrev_b32_e32 v101, 23, v80
	v_lshrrev_b32_e32 v0, 23, v81
	v_add_f64 v[80:81], v[56:57], v[60:61]
	v_fma_f64 v[42:43], v[42:43], v[8:9], v[10:11]
	v_mov_b32_e32 v55, v27
	s_waitcnt lgkmcnt(0)
	v_add_f64 v[10:11], v[46:47], v[58:59]
	v_add_f64 v[84:85], v[66:67], v[48:49]
	v_mul_lo_u16 v91, 0x144, v0
	v_add_f64 v[50:51], v[44:45], v[56:57]
	ds_read_b128 v[0:3], v31 offset:3888
	ds_read_b128 v[4:7], v31 offset:7776
	v_lshlrev_b64 v[8:9], 4, v[54:55]
	v_add_f64 v[54:55], v[64:65], v[68:69]
	v_add_nc_u32_e32 v76, 0xffffffaf, v22
	v_mul_lo_u16 v90, 0x144, v101
	v_add_f64 v[58:59], v[58:59], -v[62:63]
	v_add_f64 v[56:57], v[56:57], -v[60:61]
	v_add_f64 v[92:93], v[12:13], v[72:73]
	v_cndmask_b32_e64 v100, v76, v26, s0
	v_add_co_u32 v37, s0, s12, v8
	v_add_f64 v[86:87], v[70:71], v[78:79]
	v_add_f64 v[88:89], v[52:53], v[38:39]
	v_sub_nc_u16 v32, v28, v90
	v_sub_nc_u16 v105, v29, v91
	v_fma_f64 v[18:19], v[80:81], -0.5, v[44:45]
	v_fma_f64 v[44:45], v[82:83], -0.5, v[46:47]
	v_add_f64 v[46:47], v[72:73], v[40:41]
	v_add_f64 v[80:81], v[74:75], v[42:43]
	;; [unrolled: 1-line block ×3, first 2 shown]
	s_waitcnt lgkmcnt(1)
	v_fma_f64 v[62:63], v[84:85], -0.5, v[2:3]
	s_waitcnt lgkmcnt(0)
	v_add_f64 v[84:85], v[6:7], v[52:53]
	v_add_f64 v[90:91], v[14:15], v[74:75]
	v_add_co_ci_u32_e64 v36, s0, s13, v9, s0
	v_add_f64 v[8:9], v[50:51], v[60:61]
	v_add_f64 v[50:51], v[0:1], v[64:65]
	;; [unrolled: 1-line block ×3, first 2 shown]
	v_fma_f64 v[54:55], v[54:55], -0.5, v[0:1]
	v_add_f64 v[66:67], v[66:67], -v[48:49]
	v_add_f64 v[64:65], v[64:65], -v[68:69]
	v_add_f64 v[82:83], v[4:5], v[70:71]
	v_add_f64 v[98:99], v[52:53], -v[38:39]
	v_fma_f64 v[86:87], v[86:87], -0.5, v[4:5]
	v_fma_f64 v[88:89], v[88:89], -0.5, v[6:7]
	v_add_f64 v[70:71], v[70:71], -v[78:79]
	v_add_f64 v[74:75], v[74:75], -v[42:43]
	;; [unrolled: 1-line block ×3, first 2 shown]
	v_add_co_u32 v96, s0, 0x1000, v37
	v_fma_f64 v[94:95], v[46:47], -0.5, v[12:13]
	v_fma_f64 v[80:81], v[80:81], -0.5, v[14:15]
	v_add_f64 v[12:13], v[92:93], v[40:41]
	v_add_f64 v[6:7], v[84:85], v[38:39]
	v_fma_f64 v[38:39], v[58:59], s[4:5], v[18:19]
	v_fma_f64 v[40:41], v[56:57], s[6:7], v[44:45]
	v_add_f64 v[14:15], v[90:91], v[42:43]
	v_fma_f64 v[42:43], v[58:59], s[6:7], v[18:19]
	v_fma_f64 v[44:45], v[56:57], s[4:5], v[44:45]
	v_add_f64 v[2:3], v[60:61], v[48:49]
	v_add_f64 v[0:1], v[50:51], v[68:69]
	v_fma_f64 v[46:47], v[66:67], s[4:5], v[54:55]
	v_fma_f64 v[48:49], v[64:65], s[6:7], v[62:63]
	;; [unrolled: 1-line block ×4, first 2 shown]
	v_add_f64 v[4:5], v[82:83], v[78:79]
	v_fma_f64 v[54:55], v[98:99], s[4:5], v[86:87]
	v_fma_f64 v[56:57], v[70:71], s[6:7], v[88:89]
	;; [unrolled: 1-line block ×4, first 2 shown]
	v_add_co_ci_u32_e64 v97, s0, 0, v36, s0
	v_fma_f64 v[62:63], v[74:75], s[4:5], v[94:95]
	v_fma_f64 v[64:65], v[72:73], s[6:7], v[80:81]
	;; [unrolled: 1-line block ×4, first 2 shown]
	v_add3_u32 v19, 0, v102, v106
	v_mov_b32_e32 v77, v27
	v_lshlrev_b32_e32 v76, 1, v100
	s_barrier
	buffer_gl0_inv
	ds_write_b128 v19, v[8:11]
	ds_write_b128 v19, v[38:41] offset:1728
	ds_write_b128 v19, v[42:45] offset:3456
	ds_write_b128 v30, v[0:3]
	ds_write_b128 v30, v[46:49] offset:1728
	ds_write_b128 v30, v[50:53] offset:3456
	;; [unrolled: 3-line block ×4, first 2 shown]
	s_waitcnt lgkmcnt(0)
	s_barrier
	buffer_gl0_inv
	global_load_dwordx4 v[38:41], v[96:97], off offset:992
	v_lshlrev_b64 v[76:77], 4, v[76:77]
	v_add_co_u32 v17, s0, 0x13e0, v37
	v_add_co_ci_u32_e64 v18, s0, 0, v36, s0
	v_lshlrev_b32_sdwa v4, v16, v32 dst_sel:DWORD dst_unused:UNUSED_PAD src0_sel:DWORD src1_sel:WORD_0
	v_add_co_u32 v2, s0, s12, v76
	v_add_co_ci_u32_e64 v3, s0, s13, v77, s0
	v_and_b32_e32 v30, 0xffff, v105
	v_add_co_u32 v0, s0, 0x1000, v2
	v_add_co_ci_u32_e64 v1, s0, 0, v3, s0
	v_add_co_u32 v2, s0, 0x13e0, v2
	v_add_co_ci_u32_e64 v3, s0, 0, v3, s0
	global_load_dwordx4 v[46:49], v[0:1], off offset:992
	v_add_co_u32 v4, s0, s12, v4
	global_load_dwordx4 v[50:53], v[2:3], off offset:16
	v_add_co_ci_u32_e64 v5, null, s13, 0, s0
	v_lshlrev_b32_e32 v6, 5, v30
	v_add_co_u32 v0, s0, 0x1000, v4
	v_add_co_ci_u32_e64 v1, s0, 0, v5, s0
	v_add_co_u32 v8, s0, s12, v6
	v_add_co_ci_u32_e64 v9, null, s13, 0, s0
	v_add_co_u32 v4, s0, 0x13e0, v4
	v_add_co_ci_u32_e64 v5, s0, 0, v5, s0
	v_add_co_u32 v6, s0, 0x1000, v8
	v_add_co_ci_u32_e64 v7, s0, 0, v9, s0
	;; [unrolled: 2-line block ×3, first 2 shown]
	s_clause 0x4
	global_load_dwordx4 v[42:45], v[17:18], off offset:16
	global_load_dwordx4 v[0:3], v[0:1], off offset:992
	;; [unrolled: 1-line block ×5, first 2 shown]
	ds_read_b128 v[54:57], v31 offset:15552
	ds_read_b128 v[58:61], v31 offset:31104
	ds_read_b128 v[62:65], v31 offset:19440
	ds_read_b128 v[16:19], v31 offset:11664
	ds_read_b128 v[66:69], v31 offset:34992
	ds_read_b128 v[70:73], v31 offset:27216
	ds_read_b128 v[78:81], v31 offset:38880
	ds_read_b128 v[74:77], v31 offset:23328
	v_cmp_lt_u32_e64 s0, 0x50, v22
	v_lshlrev_b32_e32 v86, 4, v100
	v_lshlrev_b32_e32 v26, 1, v26
	v_lshlrev_b32_sdwa v23, v23, v32 dst_sel:DWORD dst_unused:UNUSED_PAD src0_sel:DWORD src1_sel:WORD_0
	v_lshl_add_u32 v30, v30, 4, 0
	v_cndmask_b32_e64 v35, 0, 0x3cc0, s0
	v_add3_u32 v100, 0, v35, v86
	s_waitcnt vmcnt(7) lgkmcnt(7)
	v_mul_f64 v[33:34], v[56:57], v[40:41]
	v_mul_f64 v[40:41], v[54:55], v[40:41]
	s_waitcnt vmcnt(6) lgkmcnt(5)
	v_mul_f64 v[84:85], v[64:65], v[48:49]
	v_mul_f64 v[48:49], v[62:63], v[48:49]
	v_fma_f64 v[33:34], v[54:55], v[38:39], -v[33:34]
	v_fma_f64 v[54:55], v[56:57], v[38:39], v[40:41]
	s_waitcnt vmcnt(5) lgkmcnt(3)
	v_mul_f64 v[56:57], v[68:69], v[52:53]
	v_mul_f64 v[52:53], v[66:67], v[52:53]
	ds_read_b128 v[38:41], v31 offset:42768
	v_fma_f64 v[62:63], v[62:63], v[46:47], -v[84:85]
	v_fma_f64 v[46:47], v[64:65], v[46:47], v[48:49]
	v_mul_u32_u24_e32 v84, 0x3cc0, v101
	v_fma_f64 v[56:57], v[66:67], v[50:51], -v[56:57]
	s_waitcnt vmcnt(4)
	v_mul_f64 v[82:83], v[60:61], v[44:45]
	s_waitcnt vmcnt(2) lgkmcnt(2)
	v_mul_f64 v[48:49], v[80:81], v[10:11]
	v_mul_f64 v[10:11], v[78:79], v[10:11]
	s_waitcnt vmcnt(1)
	v_mul_f64 v[64:65], v[72:73], v[6:7]
	v_fma_f64 v[50:51], v[68:69], v[50:51], v[52:53]
	s_waitcnt vmcnt(0) lgkmcnt(0)
	v_mul_f64 v[52:53], v[40:41], v[14:15]
	v_mul_f64 v[6:7], v[70:71], v[6:7]
	;; [unrolled: 1-line block ×3, first 2 shown]
	v_add_co_u32 v66, s0, 0x3800, v37
	v_add_co_ci_u32_e64 v67, s0, 0, v36, s0
	v_mul_f64 v[14:15], v[38:39], v[14:15]
	v_add_co_u32 v68, s0, 0x3c60, v37
	v_add_co_ci_u32_e64 v69, s0, 0, v36, s0
	v_lshlrev_b64 v[35:36], 4, v[26:27]
	v_lshlrev_b32_e32 v26, 1, v28
	v_add3_u32 v23, 0, v84, v23
	v_fma_f64 v[58:59], v[58:59], v[42:43], -v[82:83]
	v_fma_f64 v[48:49], v[78:79], v[8:9], -v[48:49]
	v_fma_f64 v[8:9], v[80:81], v[8:9], v[10:11]
	v_fma_f64 v[10:11], v[70:71], v[4:5], -v[64:65]
	v_lshlrev_b64 v[64:65], 4, v[26:27]
	v_fma_f64 v[37:38], v[38:39], v[12:13], -v[52:53]
	v_fma_f64 v[52:53], v[72:73], v[4:5], v[6:7]
	ds_read_b128 v[4:7], v31 offset:7776
	v_mul_f64 v[82:83], v[76:77], v[2:3]
	v_mul_f64 v[2:3], v[74:75], v[2:3]
	v_fma_f64 v[60:61], v[60:61], v[42:43], v[44:45]
	ds_read_b128 v[42:45], v31
	v_fma_f64 v[12:13], v[40:41], v[12:13], v[14:15]
	v_lshlrev_b32_e32 v26, 1, v29
	v_add_f64 v[28:29], v[62:63], v[56:57]
	v_add_f64 v[70:71], v[46:47], v[50:51]
	v_add_co_u32 v101, s0, s12, v35
	v_add_co_ci_u32_e64 v102, s0, s13, v36, s0
	v_lshlrev_b64 v[96:97], 4, v[26:27]
	v_add_f64 v[14:15], v[33:34], v[58:59]
	v_add_f64 v[94:95], v[33:34], -v[58:59]
	v_fma_f64 v[74:75], v[74:75], v[0:1], -v[82:83]
	v_fma_f64 v[76:77], v[76:77], v[0:1], v[2:3]
	ds_read_b128 v[0:3], v31 offset:3888
	v_add_f64 v[39:40], v[54:55], v[60:61]
	s_waitcnt lgkmcnt(1)
	v_add_f64 v[35:36], v[42:43], v[33:34]
	v_add_f64 v[82:83], v[10:11], v[37:38]
	;; [unrolled: 1-line block ×4, first 2 shown]
	v_add_f64 v[54:55], v[54:55], -v[60:61]
	v_add_f64 v[98:99], v[52:53], -v[12:13]
	s_waitcnt lgkmcnt(0)
	s_barrier
	buffer_gl0_inv
	v_fma_f64 v[41:42], v[14:15], -0.5, v[42:43]
	v_add_f64 v[14:15], v[18:19], v[52:53]
	v_add_f64 v[72:73], v[74:75], v[48:49]
	;; [unrolled: 1-line block ×4, first 2 shown]
	v_fma_f64 v[39:40], v[39:40], -0.5, v[44:45]
	v_add_f64 v[88:89], v[0:1], v[62:63]
	v_add_f64 v[43:44], v[16:17], v[10:11]
	v_fma_f64 v[28:29], v[28:29], -0.5, v[0:1]
	v_fma_f64 v[70:71], v[70:71], -0.5, v[2:3]
	v_add_f64 v[45:46], v[46:47], -v[50:51]
	v_add_f64 v[62:63], v[62:63], -v[56:57]
	v_add_f64 v[90:91], v[6:7], v[76:77]
	v_add_f64 v[92:93], v[4:5], v[74:75]
	v_add_f64 v[76:77], v[76:77], -v[8:9]
	v_add_f64 v[74:75], v[74:75], -v[48:49]
	v_fma_f64 v[82:83], v[82:83], -0.5, v[16:17]
	v_add_f64 v[0:1], v[35:36], v[58:59]
	v_fma_f64 v[58:59], v[86:87], -0.5, v[18:19]
	v_add_f64 v[2:3], v[78:79], v[60:61]
	v_fma_f64 v[16:17], v[54:55], s[4:5], v[41:42]
	v_fma_f64 v[32:33], v[54:55], s[6:7], v[41:42]
	v_add_f64 v[14:15], v[14:15], v[12:13]
	v_fma_f64 v[72:73], v[72:73], -0.5, v[4:5]
	v_fma_f64 v[52:53], v[80:81], -0.5, v[6:7]
	v_add_f64 v[80:81], v[10:11], -v[37:38]
	v_fma_f64 v[18:19], v[94:95], s[6:7], v[39:40]
	v_fma_f64 v[34:35], v[94:95], s[4:5], v[39:40]
	v_add_f64 v[6:7], v[84:85], v[50:51]
	v_add_f64 v[4:5], v[88:89], v[56:57]
	;; [unrolled: 1-line block ×3, first 2 shown]
	v_fma_f64 v[36:37], v[45:46], s[4:5], v[28:29]
	v_fma_f64 v[38:39], v[62:63], s[6:7], v[70:71]
	;; [unrolled: 1-line block ×4, first 2 shown]
	v_add_f64 v[10:11], v[90:91], v[8:9]
	v_add_f64 v[8:9], v[92:93], v[48:49]
	v_fma_f64 v[56:57], v[98:99], s[6:7], v[82:83]
	v_add_co_u32 v28, s0, 0x3800, v101
	v_add_co_ci_u32_e64 v29, s0, 0, v102, s0
	v_add_co_u32 v60, s0, 0x3c60, v101
	v_add_co_ci_u32_e64 v61, s0, 0, v102, s0
	v_fma_f64 v[44:45], v[76:77], s[4:5], v[72:73]
	v_fma_f64 v[46:47], v[74:75], s[6:7], v[52:53]
	v_fma_f64 v[48:49], v[76:77], s[6:7], v[72:73]
	v_fma_f64 v[50:51], v[74:75], s[4:5], v[52:53]
	v_fma_f64 v[52:53], v[98:99], s[4:5], v[82:83]
	v_fma_f64 v[54:55], v[80:81], s[6:7], v[58:59]
	v_fma_f64 v[58:59], v[80:81], s[4:5], v[58:59]
	ds_write_b128 v31, v[0:3]
	ds_write_b128 v31, v[16:19] offset:5184
	ds_write_b128 v31, v[32:35] offset:10368
	ds_write_b128 v100, v[4:7]
	ds_write_b128 v100, v[36:39] offset:5184
	ds_write_b128 v100, v[40:43] offset:10368
	;; [unrolled: 3-line block ×3, first 2 shown]
	ds_write_b128 v30, v[12:15] offset:31104
	ds_write_b128 v30, v[52:55] offset:36288
	;; [unrolled: 1-line block ×3, first 2 shown]
	s_waitcnt lgkmcnt(0)
	s_barrier
	buffer_gl0_inv
	s_clause 0x1
	global_load_dwordx4 v[0:3], v[66:67], off offset:1120
	global_load_dwordx4 v[8:11], v[28:29], off offset:1120
	v_add_co_u32 v12, s0, s12, v64
	global_load_dwordx4 v[4:7], v[68:69], off offset:16
	v_add_co_ci_u32_e64 v13, s0, s13, v65, s0
	v_add_co_u32 v16, s0, 0x3800, v12
	v_add_co_ci_u32_e64 v17, s0, 0, v13, s0
	v_add_co_u32 v28, s0, 0x3c60, v12
	v_add_co_ci_u32_e64 v29, s0, 0, v13, s0
	global_load_dwordx4 v[12:15], v[60:61], off offset:16
	v_add_co_u32 v23, s0, s12, v96
	v_add_co_ci_u32_e64 v26, s0, s13, v97, s0
	s_clause 0x1
	global_load_dwordx4 v[16:19], v[16:17], off offset:1120
	global_load_dwordx4 v[32:35], v[28:29], off offset:16
	v_add_co_u32 v36, s0, 0x3800, v23
	v_add_co_ci_u32_e64 v37, s0, 0, v26, s0
	v_add_co_u32 v28, s0, 0x3c60, v23
	v_add_co_ci_u32_e64 v29, s0, 0, v26, s0
	s_clause 0x1
	global_load_dwordx4 v[36:39], v[36:37], off offset:1120
	global_load_dwordx4 v[40:43], v[28:29], off offset:16
	ds_read_b128 v[44:47], v31 offset:15552
	ds_read_b128 v[48:51], v31 offset:31104
	;; [unrolled: 1-line block ×9, first 2 shown]
	ds_read_b128 v[80:83], v31
	s_waitcnt vmcnt(7) lgkmcnt(9)
	v_mul_f64 v[28:29], v[46:47], v[2:3]
	v_mul_f64 v[2:3], v[44:45], v[2:3]
	s_waitcnt vmcnt(6) lgkmcnt(7)
	v_mul_f64 v[86:87], v[54:55], v[10:11]
	v_mul_f64 v[10:11], v[52:53], v[10:11]
	s_waitcnt vmcnt(5)
	v_mul_f64 v[84:85], v[50:51], v[6:7]
	v_mul_f64 v[6:7], v[48:49], v[6:7]
	s_waitcnt vmcnt(4) lgkmcnt(6)
	v_mul_f64 v[88:89], v[58:59], v[14:15]
	v_fma_f64 v[28:29], v[44:45], v[0:1], -v[28:29]
	v_fma_f64 v[44:45], v[46:47], v[0:1], v[2:3]
	v_mul_f64 v[0:1], v[56:57], v[14:15]
	s_waitcnt vmcnt(3) lgkmcnt(4)
	v_mul_f64 v[2:3], v[66:67], v[18:19]
	v_mul_f64 v[14:15], v[64:65], v[18:19]
	s_waitcnt vmcnt(2) lgkmcnt(3)
	v_mul_f64 v[18:19], v[70:71], v[34:35]
	v_fma_f64 v[46:47], v[48:49], v[4:5], -v[84:85]
	v_fma_f64 v[48:49], v[50:51], v[4:5], v[6:7]
	v_mul_f64 v[4:5], v[68:69], v[34:35]
	s_waitcnt vmcnt(1) lgkmcnt(2)
	v_mul_f64 v[6:7], v[74:75], v[38:39]
	v_mul_f64 v[34:35], v[72:73], v[38:39]
	s_waitcnt vmcnt(0) lgkmcnt(1)
	v_mul_f64 v[38:39], v[78:79], v[42:43]
	v_fma_f64 v[50:51], v[52:53], v[8:9], -v[86:87]
	v_fma_f64 v[8:9], v[54:55], v[8:9], v[10:11]
	v_mul_f64 v[10:11], v[76:77], v[42:43]
	v_fma_f64 v[42:43], v[56:57], v[12:13], -v[88:89]
	v_fma_f64 v[12:13], v[58:59], v[12:13], v[0:1]
	v_fma_f64 v[52:53], v[64:65], v[16:17], -v[2:3]
	v_fma_f64 v[14:15], v[66:67], v[16:17], v[14:15]
	v_fma_f64 v[16:17], v[68:69], v[32:33], -v[18:19]
	s_waitcnt lgkmcnt(0)
	v_add_f64 v[66:67], v[80:81], v[28:29]
	v_add_f64 v[68:69], v[82:83], v[44:45]
	v_fma_f64 v[18:19], v[70:71], v[32:33], v[4:5]
	v_fma_f64 v[32:33], v[72:73], v[36:37], -v[6:7]
	v_fma_f64 v[34:35], v[74:75], v[36:37], v[34:35]
	v_fma_f64 v[36:37], v[76:77], v[40:41], -v[38:39]
	ds_read_b128 v[0:3], v31 offset:3888
	ds_read_b128 v[4:7], v31 offset:7776
	s_waitcnt lgkmcnt(0)
	v_fma_f64 v[38:39], v[78:79], v[40:41], v[10:11]
	v_add_f64 v[10:11], v[28:29], v[46:47]
	v_add_f64 v[40:41], v[44:45], v[48:49]
	;; [unrolled: 1-line block ×3, first 2 shown]
	v_add_f64 v[44:45], v[44:45], -v[48:49]
	v_add_f64 v[28:29], v[28:29], -v[46:47]
	s_barrier
	buffer_gl0_inv
	v_add_f64 v[56:57], v[8:9], v[12:13]
	v_add_f64 v[90:91], v[8:9], -v[12:13]
	v_add_f64 v[58:59], v[52:53], v[16:17]
	v_add_f64 v[64:65], v[14:15], v[18:19]
	;; [unrolled: 1-line block ×10, first 2 shown]
	v_fma_f64 v[80:81], v[10:11], -0.5, v[80:81]
	v_fma_f64 v[40:41], v[40:41], -0.5, v[82:83]
	v_add_f64 v[50:51], v[50:51], -v[42:43]
	v_fma_f64 v[54:55], v[54:55], -0.5, v[0:1]
	v_add_f64 v[82:83], v[14:15], -v[18:19]
	v_add_f64 v[52:53], v[52:53], -v[16:17]
	;; [unrolled: 1-line block ×3, first 2 shown]
	v_fma_f64 v[56:57], v[56:57], -0.5, v[2:3]
	v_add_f64 v[94:95], v[32:33], -v[36:37]
	v_add_f64 v[2:3], v[68:69], v[48:49]
	v_fma_f64 v[58:59], v[58:59], -0.5, v[4:5]
	v_add_f64 v[0:1], v[66:67], v[46:47]
	v_fma_f64 v[64:65], v[64:65], -0.5, v[6:7]
	v_add_f64 v[4:5], v[74:75], v[42:43]
	v_add_f64 v[6:7], v[76:77], v[12:13]
	v_fma_f64 v[60:61], v[70:71], -0.5, v[60:61]
	v_add_f64 v[8:9], v[78:79], v[16:17]
	;; [unrolled: 3-line block ×3, first 2 shown]
	v_add_f64 v[14:15], v[88:89], v[38:39]
	v_fma_f64 v[16:17], v[44:45], s[4:5], v[80:81]
	v_fma_f64 v[18:19], v[28:29], s[6:7], v[40:41]
	;; [unrolled: 1-line block ×16, first 2 shown]
	ds_write_b128 v31, v[0:3]
	ds_write_b128 v31, v[4:7] offset:3888
	ds_write_b128 v31, v[8:11] offset:7776
	;; [unrolled: 1-line block ×11, first 2 shown]
	s_waitcnt lgkmcnt(0)
	s_barrier
	buffer_gl0_inv
	s_and_saveexec_b32 s0, vcc_lo
	s_cbranch_execz .LBB0_21
; %bb.20:
	v_mul_lo_u32 v2, s3, v24
	v_mul_lo_u32 v3, s2, v25
	v_mad_u64_u32 v[0:1], null, s2, v24, 0
	v_lshl_add_u32 v25, v22, 4, 0
	v_mov_b32_e32 v23, v27
	v_lshlrev_b64 v[12:13], 4, v[20:21]
	v_add_nc_u32_e32 v26, 0xf3, v22
	v_add3_u32 v1, v1, v3, v2
	v_lshlrev_b64 v[14:15], 4, v[22:23]
	v_lshlrev_b64 v[16:17], 4, v[26:27]
	v_add_nc_u32_e32 v26, 0x1e6, v22
	v_lshlrev_b64 v[4:5], 4, v[0:1]
	ds_read_b128 v[0:3], v25
	v_add_co_u32 v18, vcc_lo, s10, v4
	v_add_co_ci_u32_e32 v19, vcc_lo, s11, v5, vcc_lo
	ds_read_b128 v[4:7], v25 offset:3888
	ds_read_b128 v[8:11], v25 offset:7776
	v_add_co_u32 v34, vcc_lo, v18, v12
	v_add_co_ci_u32_e32 v35, vcc_lo, v19, v13, vcc_lo
	v_lshlrev_b64 v[12:13], 4, v[26:27]
	v_add_co_u32 v18, vcc_lo, v34, v14
	v_add_co_ci_u32_e32 v19, vcc_lo, v35, v15, vcc_lo
	v_add_nc_u32_e32 v26, 0x2d9, v22
	v_add_co_u32 v16, vcc_lo, v34, v16
	v_add_co_ci_u32_e32 v17, vcc_lo, v35, v17, vcc_lo
	v_add_co_u32 v20, vcc_lo, v34, v12
	v_lshlrev_b64 v[23:24], 4, v[26:27]
	v_add_nc_u32_e32 v26, 0x3cc, v22
	v_add_co_ci_u32_e32 v21, vcc_lo, v35, v13, vcc_lo
	ds_read_b128 v[12:15], v25 offset:42768
	s_waitcnt lgkmcnt(3)
	global_store_dwordx4 v[18:19], v[0:3], off
	s_waitcnt lgkmcnt(2)
	global_store_dwordx4 v[16:17], v[4:7], off
	;; [unrolled: 2-line block ×3, first 2 shown]
	v_lshlrev_b64 v[20:21], 4, v[26:27]
	v_add_nc_u32_e32 v26, 0x4bf, v22
	ds_read_b128 v[0:3], v25 offset:11664
	ds_read_b128 v[4:7], v25 offset:15552
	;; [unrolled: 1-line block ×4, first 2 shown]
	v_add_co_u32 v23, vcc_lo, v34, v23
	v_lshlrev_b64 v[28:29], 4, v[26:27]
	v_add_nc_u32_e32 v26, 0x5b2, v22
	v_add_co_ci_u32_e32 v24, vcc_lo, v35, v24, vcc_lo
	v_add_co_u32 v20, vcc_lo, v34, v20
	v_lshlrev_b64 v[30:31], 4, v[26:27]
	v_add_nc_u32_e32 v26, 0x6a5, v22
	v_add_co_ci_u32_e32 v21, vcc_lo, v35, v21, vcc_lo
	v_add_co_u32 v28, vcc_lo, v34, v28
	v_add_co_ci_u32_e32 v29, vcc_lo, v35, v29, vcc_lo
	v_lshlrev_b64 v[32:33], 4, v[26:27]
	v_add_nc_u32_e32 v26, 0x798, v22
	v_add_co_u32 v30, vcc_lo, v34, v30
	v_add_co_ci_u32_e32 v31, vcc_lo, v35, v31, vcc_lo
	s_waitcnt lgkmcnt(3)
	global_store_dwordx4 v[23:24], v[0:3], off
	s_waitcnt lgkmcnt(2)
	global_store_dwordx4 v[20:21], v[4:7], off
	;; [unrolled: 2-line block ×4, first 2 shown]
	v_lshlrev_b64 v[20:21], 4, v[26:27]
	v_add_nc_u32_e32 v26, 0x88b, v22
	ds_read_b128 v[0:3], v25 offset:27216
	ds_read_b128 v[4:7], v25 offset:31104
	;; [unrolled: 1-line block ×4, first 2 shown]
	v_add_co_u32 v23, vcc_lo, v34, v32
	v_lshlrev_b64 v[28:29], 4, v[26:27]
	v_add_nc_u32_e32 v26, 0x97e, v22
	v_add_co_ci_u32_e32 v24, vcc_lo, v35, v33, vcc_lo
	v_add_co_u32 v20, vcc_lo, v34, v20
	v_lshlrev_b64 v[30:31], 4, v[26:27]
	v_add_nc_u32_e32 v26, 0xa71, v22
	v_add_co_ci_u32_e32 v21, vcc_lo, v35, v21, vcc_lo
	v_add_co_u32 v28, vcc_lo, v34, v28
	v_lshlrev_b64 v[25:26], 4, v[26:27]
	v_add_co_ci_u32_e32 v29, vcc_lo, v35, v29, vcc_lo
	v_add_co_u32 v30, vcc_lo, v34, v30
	v_add_co_ci_u32_e32 v31, vcc_lo, v35, v31, vcc_lo
	v_add_co_u32 v25, vcc_lo, v34, v25
	v_add_co_ci_u32_e32 v26, vcc_lo, v35, v26, vcc_lo
	s_waitcnt lgkmcnt(3)
	global_store_dwordx4 v[23:24], v[0:3], off
	s_waitcnt lgkmcnt(2)
	global_store_dwordx4 v[20:21], v[4:7], off
	;; [unrolled: 2-line block ×4, first 2 shown]
	global_store_dwordx4 v[25:26], v[12:15], off
.LBB0_21:
	s_endpgm
	.section	.rodata,"a",@progbits
	.p2align	6, 0x0
	.amdhsa_kernel fft_rtc_fwd_len2916_factors_6_6_3_3_3_3_wgs_243_tpt_243_halfLds_dp_op_CI_CI_unitstride_sbrr_C2R_dirReg
		.amdhsa_group_segment_fixed_size 0
		.amdhsa_private_segment_fixed_size 0
		.amdhsa_kernarg_size 104
		.amdhsa_user_sgpr_count 6
		.amdhsa_user_sgpr_private_segment_buffer 1
		.amdhsa_user_sgpr_dispatch_ptr 0
		.amdhsa_user_sgpr_queue_ptr 0
		.amdhsa_user_sgpr_kernarg_segment_ptr 1
		.amdhsa_user_sgpr_dispatch_id 0
		.amdhsa_user_sgpr_flat_scratch_init 0
		.amdhsa_user_sgpr_private_segment_size 0
		.amdhsa_wavefront_size32 1
		.amdhsa_uses_dynamic_stack 0
		.amdhsa_system_sgpr_private_segment_wavefront_offset 0
		.amdhsa_system_sgpr_workgroup_id_x 1
		.amdhsa_system_sgpr_workgroup_id_y 0
		.amdhsa_system_sgpr_workgroup_id_z 0
		.amdhsa_system_sgpr_workgroup_info 0
		.amdhsa_system_vgpr_workitem_id 0
		.amdhsa_next_free_vgpr 110
		.amdhsa_next_free_sgpr 27
		.amdhsa_reserve_vcc 1
		.amdhsa_reserve_flat_scratch 0
		.amdhsa_float_round_mode_32 0
		.amdhsa_float_round_mode_16_64 0
		.amdhsa_float_denorm_mode_32 3
		.amdhsa_float_denorm_mode_16_64 3
		.amdhsa_dx10_clamp 1
		.amdhsa_ieee_mode 1
		.amdhsa_fp16_overflow 0
		.amdhsa_workgroup_processor_mode 1
		.amdhsa_memory_ordered 1
		.amdhsa_forward_progress 0
		.amdhsa_shared_vgpr_count 0
		.amdhsa_exception_fp_ieee_invalid_op 0
		.amdhsa_exception_fp_denorm_src 0
		.amdhsa_exception_fp_ieee_div_zero 0
		.amdhsa_exception_fp_ieee_overflow 0
		.amdhsa_exception_fp_ieee_underflow 0
		.amdhsa_exception_fp_ieee_inexact 0
		.amdhsa_exception_int_div_zero 0
	.end_amdhsa_kernel
	.text
.Lfunc_end0:
	.size	fft_rtc_fwd_len2916_factors_6_6_3_3_3_3_wgs_243_tpt_243_halfLds_dp_op_CI_CI_unitstride_sbrr_C2R_dirReg, .Lfunc_end0-fft_rtc_fwd_len2916_factors_6_6_3_3_3_3_wgs_243_tpt_243_halfLds_dp_op_CI_CI_unitstride_sbrr_C2R_dirReg
                                        ; -- End function
	.section	.AMDGPU.csdata,"",@progbits
; Kernel info:
; codeLenInByte = 11796
; NumSgprs: 29
; NumVgprs: 110
; ScratchSize: 0
; MemoryBound: 0
; FloatMode: 240
; IeeeMode: 1
; LDSByteSize: 0 bytes/workgroup (compile time only)
; SGPRBlocks: 3
; VGPRBlocks: 13
; NumSGPRsForWavesPerEU: 29
; NumVGPRsForWavesPerEU: 110
; Occupancy: 9
; WaveLimiterHint : 1
; COMPUTE_PGM_RSRC2:SCRATCH_EN: 0
; COMPUTE_PGM_RSRC2:USER_SGPR: 6
; COMPUTE_PGM_RSRC2:TRAP_HANDLER: 0
; COMPUTE_PGM_RSRC2:TGID_X_EN: 1
; COMPUTE_PGM_RSRC2:TGID_Y_EN: 0
; COMPUTE_PGM_RSRC2:TGID_Z_EN: 0
; COMPUTE_PGM_RSRC2:TIDIG_COMP_CNT: 0
	.text
	.p2alignl 6, 3214868480
	.fill 48, 4, 3214868480
	.type	__hip_cuid_80e43e606f95186d,@object ; @__hip_cuid_80e43e606f95186d
	.section	.bss,"aw",@nobits
	.globl	__hip_cuid_80e43e606f95186d
__hip_cuid_80e43e606f95186d:
	.byte	0                               ; 0x0
	.size	__hip_cuid_80e43e606f95186d, 1

	.ident	"AMD clang version 19.0.0git (https://github.com/RadeonOpenCompute/llvm-project roc-6.4.0 25133 c7fe45cf4b819c5991fe208aaa96edf142730f1d)"
	.section	".note.GNU-stack","",@progbits
	.addrsig
	.addrsig_sym __hip_cuid_80e43e606f95186d
	.amdgpu_metadata
---
amdhsa.kernels:
  - .args:
      - .actual_access:  read_only
        .address_space:  global
        .offset:         0
        .size:           8
        .value_kind:     global_buffer
      - .offset:         8
        .size:           8
        .value_kind:     by_value
      - .actual_access:  read_only
        .address_space:  global
        .offset:         16
        .size:           8
        .value_kind:     global_buffer
      - .actual_access:  read_only
        .address_space:  global
        .offset:         24
        .size:           8
        .value_kind:     global_buffer
      - .actual_access:  read_only
        .address_space:  global
        .offset:         32
        .size:           8
        .value_kind:     global_buffer
      - .offset:         40
        .size:           8
        .value_kind:     by_value
      - .actual_access:  read_only
        .address_space:  global
        .offset:         48
        .size:           8
        .value_kind:     global_buffer
      - .actual_access:  read_only
        .address_space:  global
        .offset:         56
        .size:           8
        .value_kind:     global_buffer
      - .offset:         64
        .size:           4
        .value_kind:     by_value
      - .actual_access:  read_only
        .address_space:  global
        .offset:         72
        .size:           8
        .value_kind:     global_buffer
      - .actual_access:  read_only
        .address_space:  global
        .offset:         80
        .size:           8
        .value_kind:     global_buffer
      - .actual_access:  read_only
        .address_space:  global
        .offset:         88
        .size:           8
        .value_kind:     global_buffer
      - .actual_access:  write_only
        .address_space:  global
        .offset:         96
        .size:           8
        .value_kind:     global_buffer
    .group_segment_fixed_size: 0
    .kernarg_segment_align: 8
    .kernarg_segment_size: 104
    .language:       OpenCL C
    .language_version:
      - 2
      - 0
    .max_flat_workgroup_size: 243
    .name:           fft_rtc_fwd_len2916_factors_6_6_3_3_3_3_wgs_243_tpt_243_halfLds_dp_op_CI_CI_unitstride_sbrr_C2R_dirReg
    .private_segment_fixed_size: 0
    .sgpr_count:     29
    .sgpr_spill_count: 0
    .symbol:         fft_rtc_fwd_len2916_factors_6_6_3_3_3_3_wgs_243_tpt_243_halfLds_dp_op_CI_CI_unitstride_sbrr_C2R_dirReg.kd
    .uniform_work_group_size: 1
    .uses_dynamic_stack: false
    .vgpr_count:     110
    .vgpr_spill_count: 0
    .wavefront_size: 32
    .workgroup_processor_mode: 1
amdhsa.target:   amdgcn-amd-amdhsa--gfx1030
amdhsa.version:
  - 1
  - 2
...

	.end_amdgpu_metadata
